;; amdgpu-corpus repo=ROCm/rocFFT kind=compiled arch=gfx1030 opt=O3
	.text
	.amdgcn_target "amdgcn-amd-amdhsa--gfx1030"
	.amdhsa_code_object_version 6
	.protected	bluestein_single_back_len221_dim1_sp_op_CI_CI ; -- Begin function bluestein_single_back_len221_dim1_sp_op_CI_CI
	.globl	bluestein_single_back_len221_dim1_sp_op_CI_CI
	.p2align	8
	.type	bluestein_single_back_len221_dim1_sp_op_CI_CI,@function
bluestein_single_back_len221_dim1_sp_op_CI_CI: ; @bluestein_single_back_len221_dim1_sp_op_CI_CI
; %bb.0:
	s_load_dwordx4 s[0:3], s[4:5], 0x28
	v_mul_u32_u24_e32 v1, 0xf10, v0
	v_lshrrev_b32_e32 v1, 16, v1
	v_mad_u64_u32 v[56:57], null, s6, 7, v[1:2]
	v_mov_b32_e32 v57, 0
	s_waitcnt lgkmcnt(0)
	v_cmp_gt_u64_e32 vcc_lo, s[0:1], v[56:57]
	s_and_saveexec_b32 s0, vcc_lo
	s_cbranch_execz .LBB0_15
; %bb.1:
	v_mul_hi_u32 v2, 0x24924925, v56
	v_mul_lo_u16 v1, v1, 17
	s_clause 0x1
	s_load_dwordx2 s[6:7], s[4:5], 0x0
	s_load_dwordx2 s[12:13], s[4:5], 0x38
	v_sub_nc_u16 v0, v0, v1
	v_sub_nc_u32_e32 v3, v56, v2
	v_and_b32_e32 v75, 0xffff, v0
	v_cmp_gt_u16_e32 vcc_lo, 13, v0
	v_lshrrev_b32_e32 v3, 1, v3
	v_lshlrev_b32_e32 v74, 3, v75
	v_or_b32_e32 v73, 0xd0, v75
	v_add_nc_u32_e32 v2, v3, v2
	v_lshrrev_b32_e32 v2, 2, v2
	v_mul_lo_u32 v2, v2, 7
	v_sub_nc_u32_e32 v1, v56, v2
	v_mul_u32_u24_e32 v40, 0xdd, v1
	v_lshlrev_b32_e32 v76, 3, v40
	s_and_saveexec_b32 s1, vcc_lo
	s_cbranch_execz .LBB0_3
; %bb.2:
	s_load_dwordx2 s[8:9], s[4:5], 0x18
	v_lshl_add_u32 v55, v75, 3, v76
	v_add_nc_u32_e32 v77, v76, v74
	s_waitcnt lgkmcnt(0)
	s_load_dwordx4 s[8:11], s[8:9], 0x0
	s_clause 0xb
	global_load_dwordx2 v[2:3], v74, s[6:7]
	global_load_dwordx2 v[4:5], v74, s[6:7] offset:104
	global_load_dwordx2 v[6:7], v74, s[6:7] offset:208
	;; [unrolled: 1-line block ×11, first 2 shown]
	s_waitcnt lgkmcnt(0)
	v_mad_u64_u32 v[0:1], null, s10, v56, 0
	v_mad_u64_u32 v[10:11], null, s8, v75, 0
	s_mul_i32 s0, s9, 0x68
	s_mul_hi_u32 s10, s8, 0x68
	s_add_i32 s10, s10, s0
	s_waitcnt vmcnt(7)
	v_mad_u64_u32 v[31:32], null, s9, v75, v[11:12]
	s_clause 0x2
	global_load_dwordx2 v[32:33], v74, s[6:7] offset:1248
	global_load_dwordx2 v[34:35], v74, s[6:7] offset:1352
	;; [unrolled: 1-line block ×3, first 2 shown]
	v_mad_u64_u32 v[28:29], null, s11, v56, v[1:2]
	v_mad_u64_u32 v[29:30], null, s8, v73, 0
	s_mulk_i32 s8, 0x68
	v_mov_b32_e32 v11, v31
	v_mov_b32_e32 v1, v28
	;; [unrolled: 1-line block ×3, first 2 shown]
	v_lshlrev_b64 v[10:11], 3, v[10:11]
	v_lshlrev_b64 v[0:1], 3, v[0:1]
	v_mad_u64_u32 v[30:31], null, s9, v73, v[28:29]
	v_add_co_u32 v31, s0, s2, v0
	v_add_co_ci_u32_e64 v38, s0, s3, v1, s0
	v_add_co_u32 v0, s0, v31, v10
	v_add_co_ci_u32_e64 v1, s0, v38, v11, s0
	v_lshlrev_b64 v[10:11], 3, v[29:30]
	v_add_co_u32 v28, s0, v0, s8
	v_add_co_ci_u32_e64 v29, s0, s10, v1, s0
	global_load_dwordx2 v[0:1], v[0:1], off
	v_add_co_u32 v10, s0, v31, v10
	v_add_co_ci_u32_e64 v11, s0, v38, v11, s0
	v_add_co_u32 v30, s0, v28, s8
	v_add_co_ci_u32_e64 v31, s0, s10, v29, s0
	global_load_dwordx2 v[10:11], v[10:11], off
	v_add_co_u32 v38, s0, v30, s8
	v_add_co_ci_u32_e64 v39, s0, s10, v31, s0
	v_add_co_u32 v41, s0, v38, s8
	v_add_co_ci_u32_e64 v42, s0, s10, v39, s0
	s_clause 0x2
	global_load_dwordx2 v[28:29], v[28:29], off
	global_load_dwordx2 v[30:31], v[30:31], off
	;; [unrolled: 1-line block ×3, first 2 shown]
	v_add_co_u32 v43, s0, v41, s8
	v_add_co_ci_u32_e64 v44, s0, s10, v42, s0
	global_load_dwordx2 v[41:42], v[41:42], off
	v_add_co_u32 v45, s0, v43, s8
	v_add_co_ci_u32_e64 v46, s0, s10, v44, s0
	global_load_dwordx2 v[43:44], v[43:44], off
	;; [unrolled: 3-line block ×11, first 2 shown]
	s_clause 0x1
	global_load_dwordx2 v[67:68], v74, s[6:7] offset:1456
	global_load_dwordx2 v[69:70], v74, s[6:7] offset:1560
	global_load_dwordx2 v[65:66], v[65:66], off
	s_waitcnt vmcnt(18)
	v_mul_f32_e32 v71, v1, v3
	v_mul_f32_e32 v72, v0, v3
	v_fmac_f32_e32 v71, v0, v2
	v_fma_f32 v72, v1, v2, -v72
	s_waitcnt vmcnt(17)
	v_mul_f32_e32 v3, v11, v37
	v_mul_f32_e32 v37, v10, v37
	ds_write_b64 v55, v[71:72]
	v_fmac_f32_e32 v3, v10, v36
	s_waitcnt vmcnt(16)
	v_mul_f32_e32 v0, v29, v5
	v_mul_f32_e32 v1, v28, v5
	s_waitcnt vmcnt(15)
	v_mul_f32_e32 v5, v31, v7
	v_mul_f32_e32 v2, v30, v7
	v_fmac_f32_e32 v0, v28, v4
	v_fma_f32 v1, v29, v4, -v1
	v_fmac_f32_e32 v5, v30, v6
	v_fma_f32 v6, v31, v6, -v2
	s_waitcnt vmcnt(14)
	v_mul_f32_e32 v2, v38, v9
	v_mul_f32_e32 v4, v39, v9
	s_waitcnt vmcnt(13)
	v_mul_f32_e32 v7, v42, v13
	ds_write2_b64 v77, v[0:1], v[5:6] offset0:13 offset1:26
	v_fma_f32 v5, v39, v8, -v2
	v_mul_f32_e32 v1, v41, v13
	s_waitcnt vmcnt(12)
	v_mul_f32_e32 v0, v44, v15
	v_mul_f32_e32 v2, v43, v15
	s_waitcnt vmcnt(11)
	v_mul_f32_e32 v9, v46, v17
	v_mul_f32_e32 v6, v45, v17
	v_fmac_f32_e32 v4, v38, v8
	v_fmac_f32_e32 v7, v41, v12
	v_fma_f32 v8, v42, v12, -v1
	v_fmac_f32_e32 v0, v43, v14
	v_fma_f32 v1, v44, v14, -v2
	;; [unrolled: 2-line block ×3, first 2 shown]
	s_waitcnt vmcnt(10)
	v_mul_f32_e32 v2, v47, v19
	ds_write2_b64 v77, v[4:5], v[7:8] offset0:39 offset1:52
	v_mul_f32_e32 v6, v48, v19
	s_waitcnt vmcnt(9)
	v_mul_f32_e32 v8, v50, v21
	ds_write2_b64 v77, v[0:1], v[9:10] offset0:65 offset1:78
	v_fma_f32 v7, v48, v18, -v2
	v_mul_f32_e32 v1, v49, v21
	s_waitcnt vmcnt(8)
	v_mul_f32_e32 v2, v51, v23
	v_mul_f32_e32 v0, v52, v23
	v_fmac_f32_e32 v6, v47, v18
	s_waitcnt vmcnt(7)
	v_mul_f32_e32 v4, v53, v25
	v_fma_f32 v9, v50, v20, -v1
	v_fma_f32 v1, v52, v22, -v2
	v_mul_f32_e32 v12, v54, v25
	v_fmac_f32_e32 v8, v49, v20
	v_fma_f32 v13, v54, v24, -v4
	s_waitcnt vmcnt(6)
	v_mul_f32_e32 v2, v57, v27
	v_mul_f32_e32 v14, v58, v27
	v_fmac_f32_e32 v0, v51, v22
	v_fmac_f32_e32 v12, v53, v24
	s_waitcnt vmcnt(5)
	v_mul_f32_e32 v4, v59, v33
	v_mul_f32_e32 v16, v60, v33
	v_fma_f32 v15, v58, v26, -v2
	v_fmac_f32_e32 v14, v57, v26
	s_waitcnt vmcnt(4)
	v_mul_f32_e32 v18, v62, v35
	v_fma_f32 v17, v60, v32, -v4
	v_mul_f32_e32 v2, v61, v35
	s_waitcnt vmcnt(2)
	v_mul_f32_e32 v20, v64, v68
	v_mul_f32_e32 v4, v63, v68
	s_waitcnt vmcnt(0)
	v_mul_f32_e32 v22, v66, v70
	v_mul_f32_e32 v5, v65, v70
	v_fmac_f32_e32 v16, v59, v32
	v_fmac_f32_e32 v18, v61, v34
	v_fma_f32 v19, v62, v34, -v2
	v_fmac_f32_e32 v20, v63, v67
	v_fma_f32 v21, v64, v67, -v4
	;; [unrolled: 2-line block ×3, first 2 shown]
	v_fma_f32 v4, v11, v36, -v37
	ds_write2_b64 v77, v[6:7], v[8:9] offset0:91 offset1:104
	ds_write2_b64 v77, v[0:1], v[12:13] offset0:117 offset1:130
	ds_write2_b64 v77, v[14:15], v[16:17] offset0:143 offset1:156
	ds_write2_b64 v77, v[18:19], v[20:21] offset0:169 offset1:182
	ds_write2_b64 v77, v[22:23], v[3:4] offset0:195 offset1:208
.LBB0_3:
	s_or_b32 exec_lo, exec_lo, s1
	s_clause 0x1
	s_load_dwordx2 s[0:1], s[4:5], 0x20
	s_load_dwordx2 s[4:5], s[4:5], 0x8
	v_mov_b32_e32 v8, 0
	v_mov_b32_e32 v9, 0
	s_waitcnt lgkmcnt(0)
	s_barrier
	buffer_gl0_inv
                                        ; implicit-def: $vgpr26
                                        ; implicit-def: $vgpr20
                                        ; implicit-def: $vgpr16
                                        ; implicit-def: $vgpr12
                                        ; implicit-def: $vgpr4
                                        ; implicit-def: $vgpr30
                                        ; implicit-def: $vgpr34
                                        ; implicit-def: $vgpr38
	s_and_saveexec_b32 s2, vcc_lo
	s_cbranch_execz .LBB0_5
; %bb.4:
	v_lshl_add_u32 v0, v40, 3, v74
	ds_read2_b64 v[8:11], v0 offset1:13
	ds_read2_b64 v[36:39], v0 offset0:26 offset1:39
	ds_read2_b64 v[32:35], v0 offset0:52 offset1:65
	;; [unrolled: 1-line block ×7, first 2 shown]
	ds_read_b64 v[4:5], v0 offset:1664
.LBB0_5:
	s_or_b32 exec_lo, exec_lo, s2
	s_waitcnt lgkmcnt(0)
	v_sub_f32_e32 v83, v11, v5
	v_sub_f32_e32 v90, v10, v4
	v_add_f32_e32 v41, v4, v10
	v_sub_f32_e32 v88, v37, v15
	v_add_f32_e32 v43, v5, v11
	v_mul_f32_e32 v60, 0xbeb8f4ab, v83
	v_mul_f32_e32 v61, 0xbeb8f4ab, v90
	v_add_f32_e32 v42, v14, v36
	v_sub_f32_e32 v97, v36, v14
	v_mul_f32_e32 v62, 0xbf2c7751, v88
	v_fmamk_f32 v0, v41, 0x3f6eb680, v60
	v_fma_f32 v1, 0x3f6eb680, v43, -v61
	v_add_f32_e32 v44, v15, v37
	v_mul_f32_e32 v63, 0xbf2c7751, v97
	v_fmamk_f32 v3, v42, 0x3f3d2fb0, v62
	v_add_f32_e32 v0, v0, v8
	v_sub_f32_e32 v99, v39, v13
	v_sub_f32_e32 v100, v38, v12
	v_add_f32_e32 v1, v1, v9
	v_add_f32_e32 v45, v12, v38
	;; [unrolled: 1-line block ×3, first 2 shown]
	v_fma_f32 v3, 0x3f3d2fb0, v44, -v63
	v_mul_f32_e32 v64, 0xbf65296c, v99
	v_add_f32_e32 v46, v13, v39
	v_mul_f32_e32 v65, 0xbf65296c, v100
	v_sub_f32_e32 v102, v33, v19
	v_sub_f32_e32 v103, v32, v18
	v_add_f32_e32 v1, v3, v1
	v_fmamk_f32 v7, v45, 0x3ee437d1, v64
	v_fma_f32 v49, 0x3ee437d1, v46, -v65
	v_add_f32_e32 v47, v18, v32
	v_add_f32_e32 v48, v19, v33
	v_mul_f32_e32 v66, 0xbf7ee86f, v102
	v_mul_f32_e32 v68, 0xbf7ee86f, v103
	v_sub_f32_e32 v104, v35, v17
	v_sub_f32_e32 v105, v34, v16
	v_add_f32_e32 v0, v7, v0
	v_add_f32_e32 v1, v49, v1
	v_fmamk_f32 v7, v47, 0x3dbcf732, v66
	v_fma_f32 v51, 0x3dbcf732, v48, -v68
	v_add_f32_e32 v49, v16, v34
	v_mul_f32_e32 v69, 0xbf763a35, v104
	v_add_f32_e32 v50, v17, v35
	v_mul_f32_e32 v77, 0xbf763a35, v105
	v_sub_f32_e32 v107, v29, v23
	v_sub_f32_e32 v108, v28, v22
	v_mul_f32_e32 v67, 0xbf2c7751, v83
	v_add_f32_e32 v0, v7, v0
	v_add_f32_e32 v1, v51, v1
	v_fmamk_f32 v7, v49, 0xbe8c1d8e, v69
	v_fma_f32 v53, 0xbe8c1d8e, v50, -v77
	v_add_f32_e32 v51, v22, v28
	v_add_f32_e32 v52, v23, v29
	v_mul_f32_e32 v72, 0xbf4c4adb, v107
	v_mul_f32_e32 v79, 0xbf4c4adb, v108
	v_sub_f32_e32 v115, v31, v21
	v_fmamk_f32 v2, v41, 0x3f3d2fb0, v67
	v_mul_f32_e32 v71, 0xbf7ee86f, v88
	v_add_f32_e32 v0, v7, v0
	v_add_f32_e32 v1, v53, v1
	v_fmamk_f32 v7, v51, 0xbf1a4643, v72
	v_fma_f32 v55, 0xbf1a4643, v52, -v79
	v_sub_f32_e32 v119, v30, v20
	v_add_f32_e32 v53, v20, v30
	v_mul_f32_e32 v78, 0xbf06c442, v115
	v_sub_f32_e32 v116, v25, v27
	v_add_f32_e32 v2, v2, v8
	v_fmamk_f32 v3, v42, 0x3dbcf732, v71
	v_add_f32_e32 v0, v7, v0
	v_add_f32_e32 v54, v21, v31
	v_mul_f32_e32 v81, 0xbf06c442, v119
	v_add_f32_e32 v1, v55, v1
	v_fmamk_f32 v7, v53, 0xbf59a7d5, v78
	v_add_f32_e32 v55, v26, v24
	v_mul_f32_e32 v80, 0xbe3c28d5, v116
	v_mul_f32_e32 v70, 0xbf2c7751, v90
	v_fma_f32 v57, 0xbf59a7d5, v54, -v81
	v_add_f32_e32 v2, v3, v2
	v_add_f32_e32 v0, v7, v0
	v_fmamk_f32 v3, v55, 0xbf7ba420, v80
	v_mul_f32_e32 v84, 0xbf4c4adb, v99
	v_fma_f32 v6, 0x3f3d2fb0, v43, -v70
	v_sub_f32_e32 v118, v24, v26
	v_add_f32_e32 v1, v57, v1
	v_mul_f32_e32 v93, 0xbf7ee86f, v97
	v_add_f32_e32 v57, v3, v0
	v_fmamk_f32 v0, v45, 0xbf1a4643, v84
	v_mul_f32_e32 v85, 0xbe3c28d5, v102
	v_add_f32_e32 v59, v27, v25
	v_mul_f32_e32 v82, 0xbe3c28d5, v118
	v_add_f32_e32 v6, v6, v9
	v_fma_f32 v58, 0x3dbcf732, v44, -v93
	v_mul_f32_e32 v91, 0xbf4c4adb, v100
	v_add_f32_e32 v0, v0, v2
	v_fmamk_f32 v2, v47, 0xbf7ba420, v85
	v_mul_f32_e32 v86, 0x3f06c442, v104
	v_fma_f32 v7, 0xbf7ba420, v59, -v82
	v_add_f32_e32 v3, v58, v6
	v_fma_f32 v6, 0xbf1a4643, v46, -v91
	v_mul_f32_e32 v92, 0xbe3c28d5, v103
	v_add_f32_e32 v0, v2, v0
	v_fmamk_f32 v2, v49, 0xbf59a7d5, v86
	v_mul_f32_e32 v87, 0x3f763a35, v107
	v_add_f32_e32 v3, v6, v3
	v_fma_f32 v6, 0xbf7ba420, v48, -v92
	v_mul_f32_e32 v94, 0x3f06c442, v105
	v_add_f32_e32 v58, v7, v1
	v_add_f32_e32 v0, v2, v0
	v_fmamk_f32 v1, v51, 0xbe8c1d8e, v87
	v_mul_f32_e32 v111, 0xbf65296c, v83
	v_add_f32_e32 v3, v6, v3
	v_fma_f32 v6, 0xbf59a7d5, v50, -v94
	v_mul_f32_e32 v89, 0x3f65296c, v115
	v_add_f32_e32 v0, v1, v0
	v_fmamk_f32 v1, v41, 0x3ee437d1, v111
	v_mul_f32_e32 v114, 0xbf4c4adb, v88
	v_add_f32_e32 v2, v6, v3
	v_mul_f32_e32 v98, 0x3f763a35, v108
	v_fmamk_f32 v6, v53, 0x3ee437d1, v89
	v_add_f32_e32 v1, v1, v8
	v_fmamk_f32 v7, v42, 0xbf1a4643, v114
	v_mul_f32_e32 v113, 0x3e3c28d5, v99
	v_fma_f32 v3, 0xbe8c1d8e, v52, -v98
	v_mul_f32_e32 v96, 0x3f65296c, v119
	v_add_f32_e32 v0, v6, v0
	v_add_f32_e32 v1, v7, v1
	v_fmamk_f32 v6, v45, 0xbf7ba420, v113
	v_mul_f32_e32 v131, 0xbf65296c, v90
	v_add_f32_e32 v2, v3, v2
	v_fma_f32 v3, 0x3ee437d1, v54, -v96
	v_mul_f32_e32 v112, 0x3f763a35, v102
	v_add_f32_e32 v1, v6, v1
	v_fma_f32 v6, 0x3ee437d1, v43, -v131
	v_mul_f32_e32 v133, 0xbf4c4adb, v97
	v_add_f32_e32 v3, v3, v2
	v_fmamk_f32 v2, v47, 0xbe8c1d8e, v112
	v_mul_f32_e32 v117, 0x3f2c7751, v104
	v_add_f32_e32 v6, v6, v9
	v_fma_f32 v7, 0xbf1a4643, v44, -v133
	v_mul_f32_e32 v128, 0x3e3c28d5, v100
	v_mul_f32_e32 v95, 0x3eb8f4ab, v116
	v_add_f32_e32 v1, v2, v1
	v_fmamk_f32 v2, v49, 0x3f3d2fb0, v117
	v_mul_f32_e32 v109, 0xbeb8f4ab, v107
	v_add_f32_e32 v6, v7, v6
	v_fma_f32 v7, 0xbf7ba420, v46, -v128
	v_mul_f32_e32 v129, 0x3f763a35, v103
	v_fmamk_f32 v106, v55, 0x3f6eb680, v95
	v_add_f32_e32 v1, v2, v1
	v_fmamk_f32 v2, v51, 0x3f6eb680, v109
	v_mul_f32_e32 v110, 0xbf7ee86f, v115
	v_add_f32_e32 v6, v7, v6
	v_fma_f32 v7, 0xbe8c1d8e, v48, -v129
	v_mul_f32_e32 v126, 0x3f2c7751, v105
	v_add_f32_e32 v1, v2, v1
	v_fmamk_f32 v121, v53, 0x3dbcf732, v110
	v_add_f32_e32 v2, v106, v0
	v_add_f32_e32 v0, v7, v6
	v_fma_f32 v6, 0x3f3d2fb0, v50, -v126
	v_mul_f32_e32 v137, 0xbf7ee86f, v83
	v_mul_f32_e32 v148, 0xbf7ee86f, v90
	v_add_f32_e32 v1, v121, v1
	v_mul_f32_e32 v132, 0xbeb8f4ab, v108
	v_add_f32_e32 v0, v6, v0
	v_fmamk_f32 v6, v41, 0x3dbcf732, v137
	v_mul_f32_e32 v139, 0xbe3c28d5, v88
	v_fma_f32 v121, 0x3dbcf732, v43, -v148
	v_mul_f32_e32 v151, 0xbe3c28d5, v97
	v_fma_f32 v122, 0x3f6eb680, v52, -v132
	v_add_f32_e32 v6, v6, v8
	v_fmamk_f32 v123, v42, 0xbf7ba420, v139
	v_add_f32_e32 v121, v121, v9
	v_fma_f32 v124, 0xbf7ba420, v44, -v151
	v_mul_f32_e32 v140, 0x3f763a35, v99
	v_mul_f32_e32 v145, 0x3f763a35, v100
	v_add_f32_e32 v0, v122, v0
	v_add_f32_e32 v6, v123, v6
	;; [unrolled: 1-line block ×3, first 2 shown]
	v_fmamk_f32 v122, v45, 0xbe8c1d8e, v140
	v_fma_f32 v123, 0xbe8c1d8e, v46, -v145
	v_mul_f32_e32 v141, 0x3eb8f4ab, v102
	v_mul_f32_e32 v147, 0x3eb8f4ab, v103
	;; [unrolled: 1-line block ×3, first 2 shown]
	v_add_f32_e32 v6, v122, v6
	v_add_f32_e32 v121, v123, v121
	v_fmamk_f32 v122, v47, 0x3f6eb680, v141
	v_fma_f32 v123, 0x3f6eb680, v48, -v147
	v_mul_f32_e32 v142, 0xbf65296c, v104
	v_mul_f32_e32 v149, 0xbf65296c, v105
	v_fma_f32 v124, 0x3dbcf732, v54, -v134
	v_add_f32_e32 v6, v122, v6
	v_add_f32_e32 v121, v123, v121
	v_fmamk_f32 v122, v49, 0x3ee437d1, v142
	v_fma_f32 v123, 0x3ee437d1, v50, -v149
	v_mul_f32_e32 v143, 0xbf06c442, v107
	v_mul_f32_e32 v150, 0xbf06c442, v108
	v_add_f32_e32 v124, v124, v0
	v_add_f32_e32 v0, v122, v6
	;; [unrolled: 1-line block ×3, first 2 shown]
	v_fmamk_f32 v121, v51, 0xbf59a7d5, v143
	v_fma_f32 v122, 0xbf59a7d5, v52, -v150
	v_mul_f32_e32 v138, 0x3f4c4adb, v115
	v_mul_f32_e32 v146, 0x3f4c4adb, v119
	;; [unrolled: 1-line block ×5, first 2 shown]
	v_add_f32_e32 v0, v121, v0
	v_add_f32_e32 v6, v122, v6
	v_fmamk_f32 v121, v53, 0xbf1a4643, v138
	v_fma_f32 v122, 0xbf1a4643, v54, -v146
	v_mul_f32_e32 v136, 0x3f2c7751, v116
	v_mul_f32_e32 v144, 0x3f2c7751, v118
	v_fma_f32 v120, 0x3f6eb680, v59, -v101
	v_fmamk_f32 v7, v55, 0xbf59a7d5, v106
	v_fma_f32 v123, 0xbf59a7d5, v59, -v135
	v_add_f32_e32 v121, v121, v0
	v_add_f32_e32 v122, v122, v6
	v_fmamk_f32 v6, v55, 0x3f3d2fb0, v136
	v_fma_f32 v125, 0x3f3d2fb0, v59, -v144
	v_add_f32_e32 v3, v120, v3
	v_add_f32_e32 v0, v7, v1
	v_add_f32_e32 v1, v123, v124
	v_add_f32_e32 v6, v6, v121
	v_add_f32_e32 v7, v125, v122
	s_barrier
	buffer_gl0_inv
	s_and_saveexec_b32 s2, vcc_lo
	s_cbranch_execz .LBB0_7
; %bb.6:
	v_mul_f32_e32 v130, 0xbe3c28d5, v90
	v_mul_f32_e32 v127, 0x3eb8f4ab, v97
	;; [unrolled: 1-line block ×5, first 2 shown]
	v_fmamk_f32 v152, v43, 0xbf7ba420, v130
	v_fmamk_f32 v153, v44, 0x3f6eb680, v127
	v_fma_f32 v154, 0xbf7ba420, v41, -v121
	v_mul_f32_e32 v120, 0xbf06c442, v99
	v_add_f32_e32 v11, v11, v9
	v_add_f32_e32 v152, v152, v9
	v_fma_f32 v156, 0x3f6eb680, v42, -v122
	v_add_f32_e32 v10, v10, v8
	v_mul_f32_e32 v123, 0x3f2c7751, v103
	v_fmamk_f32 v155, v46, 0xbf59a7d5, v125
	v_add_f32_e32 v152, v153, v152
	v_add_f32_e32 v153, v154, v8
	v_fma_f32 v158, 0xbf59a7d5, v45, -v120
	v_mul_f32_e32 v154, 0x3f2c7751, v102
	v_add_f32_e32 v11, v37, v11
	v_add_f32_e32 v10, v36, v10
	;; [unrolled: 1-line block ×3, first 2 shown]
	v_mul_f32_e32 v124, 0xbf4c4adb, v105
	v_fmamk_f32 v157, v48, 0x3f3d2fb0, v123
	v_add_f32_e32 v152, v155, v152
	v_add_f32_e32 v11, v39, v11
	;; [unrolled: 1-line block ×3, first 2 shown]
	v_fma_f32 v153, 0x3f3d2fb0, v47, -v154
	v_mul_f32_e32 v39, 0xbf4c4adb, v104
	v_add_f32_e32 v10, v38, v10
	v_add_f32_e32 v36, v157, v152
	v_fmamk_f32 v152, v50, 0xbf1a4643, v124
	v_mul_f32_e32 v167, 0x3f65296c, v108
	v_add_f32_e32 v37, v153, v37
	v_fma_f32 v38, 0xbf1a4643, v49, -v39
	v_add_f32_e32 v10, v32, v10
	v_mul_f32_e32 v153, 0x3f65296c, v107
	v_add_f32_e32 v36, v152, v36
	v_fmamk_f32 v155, v52, 0x3ee437d1, v167
	v_add_f32_e32 v11, v33, v11
	v_add_f32_e32 v32, v38, v37
	v_mul_f32_e32 v171, 0xbf763a35, v119
	v_add_f32_e32 v193, v34, v10
	v_fma_f32 v10, 0x3ee437d1, v51, -v153
	v_mul_f32_e32 v152, 0xbf763a35, v115
	v_add_f32_e32 v194, v35, v11
	v_add_f32_e32 v11, v155, v36
	v_fmamk_f32 v33, v54, 0xbe8c1d8e, v171
	v_mul_f32_e32 v156, 0x3f7ee86f, v118
	v_add_f32_e32 v10, v10, v32
	v_fma_f32 v32, 0xbe8c1d8e, v53, -v152
	v_mul_f32_e32 v172, 0xbf06c442, v90
	v_mul_f32_e32 v38, 0x3f7ee86f, v116
	v_add_f32_e32 v11, v33, v11
	v_fmamk_f32 v33, v59, 0x3dbcf732, v156
	v_add_f32_e32 v10, v32, v10
	v_fmamk_f32 v32, v43, 0xbf59a7d5, v172
	v_mul_f32_e32 v174, 0x3f65296c, v97
	v_fma_f32 v34, 0x3dbcf732, v55, -v38
	v_mul_f32_e32 v168, 0xbf06c442, v83
	v_add_f32_e32 v11, v33, v11
	v_add_f32_e32 v32, v32, v9
	v_fmamk_f32 v33, v44, 0x3ee437d1, v174
	v_mul_f32_e32 v175, 0xbf7ee86f, v100
	v_add_f32_e32 v10, v34, v10
	v_fma_f32 v34, 0xbf59a7d5, v41, -v168
	v_mul_f32_e32 v169, 0x3f65296c, v88
	v_add_f32_e32 v32, v33, v32
	v_fmamk_f32 v33, v46, 0x3dbcf732, v175
	v_mul_f32_e32 v176, 0x3f4c4adb, v103
	v_add_f32_e32 v34, v34, v8
	v_fma_f32 v35, 0x3ee437d1, v42, -v169
	v_mul_f32_e32 v170, 0xbf7ee86f, v99
	;; [unrolled: 6-line block ×5, first 2 shown]
	v_mul_f32_e32 v180, 0xbf4c4adb, v90
	v_add_f32_e32 v32, v33, v32
	v_fmamk_f32 v33, v54, 0x3f3d2fb0, v165
	v_add_f32_e32 v34, v35, v34
	v_fma_f32 v35, 0xbf7ba420, v51, -v161
	v_fmamk_f32 v36, v43, 0xbf1a4643, v180
	v_mul_f32_e32 v181, 0x3f763a35, v97
	v_mul_f32_e32 v184, 0xbf4c4adb, v83
	v_add_f32_e32 v32, v33, v32
	v_add_f32_e32 v33, v35, v34
	;; [unrolled: 1-line block ×3, first 2 shown]
	v_fmamk_f32 v35, v44, 0xbe8c1d8e, v181
	v_mul_f32_e32 v183, 0xbeb8f4ab, v100
	v_fma_f32 v37, 0xbf1a4643, v41, -v184
	v_mul_f32_e32 v185, 0x3f763a35, v88
	v_mul_f32_e32 v186, 0xbf06c442, v103
	v_add_f32_e32 v34, v35, v34
	v_fmamk_f32 v35, v46, 0x3f6eb680, v183
	v_add_f32_e32 v37, v37, v8
	v_fma_f32 v155, 0xbe8c1d8e, v42, -v185
	v_mul_f32_e32 v179, 0xbeb8f4ab, v99
	v_mul_f32_e32 v163, 0x3f2c7751, v115
	v_add_f32_e32 v34, v35, v34
	v_fmamk_f32 v35, v48, 0xbf59a7d5, v186
	v_mul_f32_e32 v187, 0x3f7ee86f, v105
	v_add_f32_e32 v37, v155, v37
	v_fma_f32 v155, 0x3f6eb680, v45, -v179
	v_mul_f32_e32 v164, 0xbf06c442, v102
	v_fma_f32 v36, 0x3f3d2fb0, v53, -v163
	v_mul_f32_e32 v173, 0xbf763a35, v118
	v_add_f32_e32 v34, v35, v34
	v_fmamk_f32 v35, v50, 0x3dbcf732, v187
	v_mul_f32_e32 v188, 0xbf2c7751, v108
	v_add_f32_e32 v37, v155, v37
	v_fma_f32 v155, 0xbf59a7d5, v47, -v164
	v_mul_f32_e32 v162, 0x3f7ee86f, v104
	v_mul_f32_e32 v182, 0xbf763a35, v116
	v_add_f32_e32 v36, v36, v33
	v_fmamk_f32 v33, v59, 0xbe8c1d8e, v173
	v_add_f32_e32 v34, v35, v34
	v_fmamk_f32 v35, v52, 0x3f3d2fb0, v188
	v_mul_f32_e32 v166, 0xbe3c28d5, v119
	v_add_f32_e32 v37, v155, v37
	v_fma_f32 v155, 0x3dbcf732, v49, -v162
	v_mul_f32_e32 v157, 0xbf2c7751, v107
	v_fma_f32 v190, 0xbe8c1d8e, v55, -v182
	v_add_f32_e32 v33, v33, v32
	v_add_f32_e32 v32, v35, v34
	v_fmamk_f32 v34, v54, 0xbf7ba420, v166
	v_add_f32_e32 v35, v155, v37
	v_fma_f32 v37, 0x3f3d2fb0, v51, -v157
	v_mul_f32_e32 v155, 0xbe3c28d5, v115
	v_mul_f32_e32 v160, 0x3f65296c, v118
	;; [unrolled: 1-line block ×3, first 2 shown]
	v_add_f32_e32 v34, v34, v32
	v_add_f32_e32 v35, v37, v35
	v_fma_f32 v37, 0xbf7ba420, v53, -v155
	v_fmamk_f32 v191, v59, 0x3ee437d1, v160
	v_add_f32_e32 v32, v190, v36
	v_fmamk_f32 v36, v43, 0xbe8c1d8e, v189
	v_mul_f32_e32 v90, 0x3f06c442, v97
	v_add_f32_e32 v37, v37, v35
	v_add_f32_e32 v35, v191, v34
	v_mul_f32_e32 v190, 0xbf763a35, v83
	v_add_f32_e32 v34, v36, v9
	v_fmamk_f32 v36, v44, 0xbf59a7d5, v90
	v_mul_f32_e32 v100, 0x3f2c7751, v100
	v_mul_f32_e32 v191, 0x3f06c442, v88
	v_fma_f32 v97, 0xbe8c1d8e, v41, -v190
	v_mul_f32_e32 v103, 0xbf65296c, v103
	v_add_f32_e32 v34, v36, v34
	v_fmamk_f32 v36, v46, 0x3f3d2fb0, v100
	v_mul_f32_e32 v192, 0x3f2c7751, v99
	v_add_f32_e32 v88, v97, v8
	v_fma_f32 v97, 0xbf59a7d5, v42, -v191
	v_mul_f32_e32 v99, 0xbe3c28d5, v105
	v_add_f32_e32 v34, v36, v34
	v_fmamk_f32 v36, v48, 0x3ee437d1, v103
	v_mul_f32_e32 v105, 0xbf65296c, v102
	v_add_f32_e32 v88, v97, v88
	;; [unrolled: 6-line block ×3, first 2 shown]
	v_fma_f32 v97, 0x3ee437d1, v47, -v105
	v_mul_f32_e32 v104, 0xbe3c28d5, v104
	v_add_f32_e32 v34, v36, v34
	v_fmamk_f32 v36, v52, 0x3dbcf732, v102
	v_fma_f32 v108, 0x3ee437d1, v55, -v83
	v_add_f32_e32 v195, v97, v88
	v_mul_f32_e32 v97, 0xbeb8f4ab, v119
	v_mul_f32_e32 v88, 0x3f7ee86f, v107
	v_add_f32_e32 v36, v36, v34
	v_mul_f32_e32 v34, 0x3dbcf732, v43
	v_mul_f32_e32 v107, 0xbeb8f4ab, v115
	;; [unrolled: 1-line block ×3, first 2 shown]
	v_fma_f32 v196, 0xbf7ba420, v49, -v104
	v_add_f32_e32 v29, v29, v194
	v_add_f32_e32 v34, v148, v34
	v_fmamk_f32 v148, v54, 0x3f6eb680, v97
	v_add_f32_e32 v115, v151, v115
	v_add_f32_e32 v119, v196, v195
	v_fma_f32 v195, 0x3dbcf732, v51, -v88
	v_add_f32_e32 v151, v34, v9
	v_add_f32_e32 v34, v108, v37
	v_mul_f32_e32 v37, 0xbe8c1d8e, v46
	v_add_f32_e32 v36, v148, v36
	v_mul_f32_e32 v148, 0x3dbcf732, v41
	;; [unrolled: 2-line block ×4, first 2 shown]
	v_mul_f32_e32 v118, 0xbf7ba420, v42
	v_sub_f32_e32 v137, v148, v137
	v_add_f32_e32 v119, v195, v119
	v_add_f32_e32 v37, v37, v115
	;; [unrolled: 1-line block ×3, first 2 shown]
	v_mul_f32_e32 v147, 0x3ee437d1, v50
	v_sub_f32_e32 v118, v118, v139
	v_add_f32_e32 v137, v137, v8
	v_mul_f32_e32 v115, 0xbf4c4adb, v116
	v_mul_f32_e32 v116, 0xbe8c1d8e, v45
	v_add_f32_e32 v37, v145, v37
	v_add_f32_e32 v139, v149, v147
	;; [unrolled: 1-line block ×3, first 2 shown]
	v_mul_f32_e32 v137, 0xbf59a7d5, v52
	v_sub_f32_e32 v116, v116, v140
	v_mul_f32_e32 v140, 0x3f6eb680, v47
	v_fma_f32 v195, 0x3f6eb680, v53, -v107
	v_add_f32_e32 v37, v139, v37
	v_add_f32_e32 v137, v150, v137
	;; [unrolled: 1-line block ×3, first 2 shown]
	v_sub_f32_e32 v118, v140, v141
	v_mul_f32_e32 v139, 0x3ee437d1, v49
	v_mul_f32_e32 v141, 0xbf1a4643, v54
	v_add_f32_e32 v119, v195, v119
	v_fmamk_f32 v145, v59, 0xbf1a4643, v108
	v_fma_f32 v140, 0xbf1a4643, v55, -v115
	v_add_f32_e32 v137, v137, v37
	v_add_f32_e32 v116, v118, v116
	v_sub_f32_e32 v118, v139, v142
	v_mul_f32_e32 v139, 0xbf59a7d5, v51
	v_add_f32_e32 v141, v146, v141
	v_add_f32_e32 v29, v31, v29
	;; [unrolled: 1-line block ×6, first 2 shown]
	v_sub_f32_e32 v118, v139, v143
	v_add_f32_e32 v119, v141, v137
	v_mul_f32_e32 v137, 0x3ee437d1, v43
	v_mul_f32_e32 v139, 0xbf1a4643, v53
	v_add_f32_e32 v25, v25, v29
	v_add_f32_e32 v28, v30, v28
	;; [unrolled: 1-line block ×3, first 2 shown]
	v_mul_f32_e32 v118, 0xbf1a4643, v44
	v_add_f32_e32 v131, v131, v137
	v_sub_f32_e32 v137, v139, v138
	v_add_f32_e32 v25, v27, v25
	v_add_f32_e32 v27, v24, v28
	;; [unrolled: 1-line block ×5, first 2 shown]
	v_mul_f32_e32 v133, 0x3ee437d1, v41
	v_mul_f32_e32 v137, 0xbf7ba420, v46
	v_add_f32_e32 v21, v21, v25
	v_add_f32_e32 v25, v26, v27
	v_fma_f32 v26, 0xbf7ba420, v43, -v130
	v_add_f32_e32 v118, v118, v131
	v_mul_f32_e32 v131, 0xbf1a4643, v42
	v_sub_f32_e32 v111, v133, v111
	v_add_f32_e32 v128, v128, v137
	v_mul_f32_e32 v133, 0xbe8c1d8e, v48
	v_add_f32_e32 v21, v23, v21
	v_add_f32_e32 v20, v20, v25
	;; [unrolled: 1-line block ×3, first 2 shown]
	v_fma_f32 v25, 0x3f6eb680, v44, -v127
	v_mul_f32_e32 v139, 0x3f3d2fb0, v55
	v_sub_f32_e32 v114, v131, v114
	v_add_f32_e32 v111, v111, v8
	v_mul_f32_e32 v131, 0xbf7ba420, v45
	v_add_f32_e32 v118, v128, v118
	v_add_f32_e32 v128, v129, v133
	v_mul_f32_e32 v129, 0x3f3d2fb0, v50
	v_add_f32_e32 v17, v17, v21
	v_add_f32_e32 v20, v22, v20
	;; [unrolled: 1-line block ×3, first 2 shown]
	v_fma_f32 v22, 0xbf59a7d5, v46, -v125
	v_sub_f32_e32 v136, v139, v136
	v_add_f32_e32 v111, v114, v111
	v_sub_f32_e32 v113, v131, v113
	v_mul_f32_e32 v114, 0xbe8c1d8e, v47
	v_add_f32_e32 v128, v128, v118
	v_add_f32_e32 v126, v126, v129
	v_mul_f32_e32 v129, 0x3f6eb680, v52
	v_add_f32_e32 v17, v19, v17
	v_add_f32_e32 v16, v16, v20
	;; [unrolled: 1-line block ×3, first 2 shown]
	v_fma_f32 v20, 0x3f3d2fb0, v48, -v123
	v_add_f32_e32 v111, v113, v111
	v_sub_f32_e32 v112, v114, v112
	v_add_f32_e32 v118, v136, v116
	v_mul_f32_e32 v113, 0x3f3d2fb0, v49
	v_add_f32_e32 v114, v126, v128
	v_add_f32_e32 v116, v132, v129
	;; [unrolled: 1-line block ×3, first 2 shown]
	v_fmac_f32_e32 v121, 0xbf7ba420, v41
	v_add_f32_e32 v16, v18, v16
	v_add_f32_e32 v17, v20, v19
	v_fma_f32 v18, 0xbf1a4643, v50, -v124
	v_add_f32_e32 v111, v112, v111
	v_mul_f32_e32 v112, 0x3dbcf732, v54
	v_sub_f32_e32 v113, v113, v117
	v_add_f32_e32 v114, v116, v114
	v_mul_f32_e32 v116, 0x3f3d2fb0, v43
	v_add_f32_e32 v13, v15, v13
	v_add_f32_e32 v15, v121, v8
	v_fmac_f32_e32 v122, 0x3f6eb680, v42
	v_add_f32_e32 v12, v12, v16
	v_add_f32_e32 v16, v18, v17
	v_fma_f32 v17, 0x3ee437d1, v52, -v167
	v_mul_f32_e32 v117, 0x3f6eb680, v51
	v_add_f32_e32 v112, v134, v112
	v_add_f32_e32 v111, v113, v111
	v_mul_f32_e32 v113, 0x3dbcf732, v44
	v_add_f32_e32 v70, v70, v116
	v_add_f32_e32 v5, v5, v13
	;; [unrolled: 1-line block ×5, first 2 shown]
	v_fma_f32 v15, 0xbe8c1d8e, v54, -v171
	v_fma_f32 v16, 0xbf59a7d5, v43, -v172
	v_sub_f32_e32 v109, v117, v109
	v_add_f32_e32 v112, v112, v114
	v_mul_f32_e32 v114, 0x3dbcf732, v53
	v_add_f32_e32 v93, v93, v113
	v_add_f32_e32 v70, v70, v9
	v_fmac_f32_e32 v120, 0xbf59a7d5, v45
	v_add_f32_e32 v4, v4, v12
	v_add_f32_e32 v12, v15, v14
	;; [unrolled: 1-line block ×3, first 2 shown]
	v_fma_f32 v15, 0x3ee437d1, v44, -v174
	v_add_f32_e32 v109, v109, v111
	v_mul_f32_e32 v111, 0xbf1a4643, v46
	v_sub_f32_e32 v110, v114, v110
	v_add_f32_e32 v70, v93, v70
	v_mul_f32_e32 v93, 0x3f3d2fb0, v41
	v_add_f32_e32 v13, v120, v13
	v_fmac_f32_e32 v154, 0x3f3d2fb0, v47
	v_fmac_f32_e32 v168, 0xbf59a7d5, v41
	v_add_f32_e32 v14, v15, v14
	v_fma_f32 v15, 0x3dbcf732, v46, -v175
	v_add_f32_e32 v91, v91, v111
	v_mul_f32_e32 v111, 0xbf7ba420, v48
	v_add_f32_e32 v109, v110, v109
	v_mul_f32_e32 v110, 0x3dbcf732, v42
	v_sub_f32_e32 v67, v93, v67
	v_add_f32_e32 v13, v154, v13
	v_fmac_f32_e32 v39, 0xbf1a4643, v49
	v_add_f32_e32 v17, v168, v8
	v_fmac_f32_e32 v169, 0x3ee437d1, v42
	v_add_f32_e32 v14, v15, v14
	v_fma_f32 v15, 0xbf1a4643, v48, -v176
	v_add_f32_e32 v70, v91, v70
	v_add_f32_e32 v91, v92, v111
	v_mul_f32_e32 v92, 0xbf59a7d5, v50
	v_sub_f32_e32 v71, v110, v71
	v_add_f32_e32 v67, v67, v8
	v_mul_f32_e32 v110, 0xbf1a4643, v45
	v_fma_f32 v16, 0x3dbcf732, v59, -v156
	v_add_f32_e32 v13, v39, v13
	v_fmac_f32_e32 v153, 0x3ee437d1, v51
	v_add_f32_e32 v17, v169, v17
	v_fmac_f32_e32 v170, 0x3dbcf732, v45
	v_add_f32_e32 v14, v15, v14
	v_fma_f32 v15, 0x3f6eb680, v50, -v177
	v_add_f32_e32 v70, v91, v70
	v_add_f32_e32 v91, v94, v92
	;; [unrolled: 1-line block ×3, first 2 shown]
	v_mul_f32_e32 v71, 0xbe8c1d8e, v52
	v_sub_f32_e32 v84, v110, v84
	v_mul_f32_e32 v92, 0xbf7ba420, v47
	v_add_f32_e32 v18, v153, v13
	v_fmac_f32_e32 v152, 0xbe8c1d8e, v53
	v_add_f32_e32 v13, v16, v12
	v_add_f32_e32 v16, v170, v17
	v_fmac_f32_e32 v158, 0xbf1a4643, v47
	v_add_f32_e32 v14, v15, v14
	v_fma_f32 v15, 0xbf7ba420, v52, -v178
	v_fma_f32 v17, 0xbf1a4643, v43, -v180
	v_add_f32_e32 v70, v91, v70
	v_add_f32_e32 v91, v98, v71
	;; [unrolled: 1-line block ×3, first 2 shown]
	v_sub_f32_e32 v84, v92, v85
	v_mul_f32_e32 v85, 0xbf59a7d5, v49
	v_mul_f32_e32 v92, 0x3ee437d1, v54
	v_add_f32_e32 v12, v152, v18
	v_add_f32_e32 v16, v158, v16
	v_fmac_f32_e32 v159, 0x3f6eb680, v49
	v_add_f32_e32 v14, v15, v14
	v_fma_f32 v15, 0x3f3d2fb0, v54, -v165
	v_add_f32_e32 v17, v17, v9
	v_fma_f32 v18, 0xbe8c1d8e, v44, -v181
	v_add_f32_e32 v91, v91, v70
	v_add_f32_e32 v67, v84, v67
	v_sub_f32_e32 v84, v85, v86
	v_mul_f32_e32 v85, 0xbe8c1d8e, v51
	v_add_f32_e32 v86, v96, v92
	v_add_f32_e32 v16, v159, v16
	v_fmac_f32_e32 v161, 0xbf7ba420, v51
	v_add_f32_e32 v14, v15, v14
	v_add_f32_e32 v15, v18, v17
	v_fma_f32 v17, 0x3f6eb680, v46, -v183
	v_add_f32_e32 v67, v84, v67
	v_sub_f32_e32 v84, v85, v87
	v_add_f32_e32 v85, v86, v91
	v_mul_f32_e32 v86, 0x3f6eb680, v43
	v_add_f32_e32 v16, v161, v16
	v_fmac_f32_e32 v163, 0x3f3d2fb0, v53
	v_fmac_f32_e32 v184, 0xbf1a4643, v41
	v_add_f32_e32 v15, v17, v15
	v_fma_f32 v17, 0xbf59a7d5, v48, -v186
	v_mul_f32_e32 v92, 0x3f6eb680, v59
	v_mul_f32_e32 v91, 0x3ee437d1, v53
	v_add_f32_e32 v61, v61, v86
	v_mul_f32_e32 v86, 0x3f6eb680, v41
	v_fma_f32 v18, 0xbe8c1d8e, v59, -v173
	v_add_f32_e32 v16, v163, v16
	v_add_f32_e32 v19, v184, v8
	v_fmac_f32_e32 v185, 0xbe8c1d8e, v42
	v_fmac_f32_e32 v182, 0xbe8c1d8e, v55
	v_add_f32_e32 v17, v17, v15
	v_fma_f32 v20, 0x3dbcf732, v50, -v187
	v_mul_f32_e32 v93, 0xbf59a7d5, v55
	v_add_f32_e32 v87, v101, v92
	v_add_f32_e32 v67, v84, v67
	v_mul_f32_e32 v84, 0x3f3d2fb0, v44
	v_sub_f32_e32 v89, v91, v89
	v_mul_f32_e32 v91, 0x3f6eb680, v55
	v_mul_f32_e32 v92, 0x3f3d2fb0, v42
	v_sub_f32_e32 v60, v86, v60
	v_add_f32_e32 v15, v18, v14
	v_add_f32_e32 v18, v185, v19
	;; [unrolled: 1-line block ×4, first 2 shown]
	v_fma_f32 v17, 0x3f3d2fb0, v52, -v188
	v_fma_f32 v19, 0xbe8c1d8e, v43, -v189
	v_sub_f32_e32 v93, v93, v106
	v_add_f32_e32 v63, v63, v84
	v_add_f32_e32 v61, v61, v9
	;; [unrolled: 1-line block ×3, first 2 shown]
	v_mul_f32_e32 v84, 0x3ee437d1, v46
	v_sub_f32_e32 v89, v91, v95
	v_mul_f32_e32 v91, 0x3ee437d1, v45
	v_add_f32_e32 v60, v60, v8
	v_sub_f32_e32 v62, v92, v62
	v_fmac_f32_e32 v190, 0xbe8c1d8e, v41
	v_add_f32_e32 v16, v17, v16
	v_add_f32_e32 v9, v19, v9
	v_fma_f32 v17, 0xbf59a7d5, v44, -v90
	v_add_f32_e32 v70, v93, v109
	v_add_f32_e32 v61, v63, v61
	v_mul_f32_e32 v63, 0x3dbcf732, v47
	v_add_f32_e32 v65, v65, v84
	v_mul_f32_e32 v93, 0x3dbcf732, v48
	v_add_f32_e32 v60, v62, v60
	v_sub_f32_e32 v62, v91, v64
	v_add_f32_e32 v8, v190, v8
	v_fmac_f32_e32 v191, 0xbf59a7d5, v42
	v_add_f32_e32 v9, v17, v9
	v_fma_f32 v17, 0x3f3d2fb0, v46, -v100
	v_add_f32_e32 v85, v87, v85
	v_add_f32_e32 v84, v89, v67
	v_mul_f32_e32 v67, 0xbe8c1d8e, v49
	v_mul_f32_e32 v87, 0xbe8c1d8e, v50
	v_add_f32_e32 v61, v65, v61
	v_add_f32_e32 v65, v68, v93
	;; [unrolled: 1-line block ×3, first 2 shown]
	v_sub_f32_e32 v29, v63, v66
	v_fmac_f32_e32 v179, 0x3f6eb680, v45
	v_add_f32_e32 v8, v191, v8
	v_fmac_f32_e32 v192, 0x3f3d2fb0, v45
	v_add_f32_e32 v9, v17, v9
	v_fma_f32 v17, 0x3ee437d1, v48, -v103
	v_mul_f32_e32 v68, 0xbf1a4643, v51
	v_mul_f32_e32 v89, 0xbf1a4643, v52
	v_add_f32_e32 v61, v65, v61
	v_add_f32_e32 v77, v77, v87
	v_add_f32_e32 v28, v29, v60
	v_sub_f32_e32 v29, v67, v69
	v_add_f32_e32 v18, v179, v18
	v_fmac_f32_e32 v164, 0xbf59a7d5, v47
	v_add_f32_e32 v8, v192, v8
	v_fmac_f32_e32 v105, 0x3ee437d1, v47
	v_add_f32_e32 v9, v17, v9
	v_fma_f32 v17, 0xbf7ba420, v50, -v99
	v_mul_f32_e32 v86, 0xbf59a7d5, v53
	v_mul_f32_e32 v65, 0xbf59a7d5, v54
	v_add_f32_e32 v61, v77, v61
	v_add_f32_e32 v77, v79, v89
	v_add_f32_e32 v27, v29, v28
	v_sub_f32_e32 v28, v68, v72
	v_add_f32_e32 v18, v164, v18
	v_fmac_f32_e32 v162, 0x3dbcf732, v49
	v_add_f32_e32 v8, v105, v8
	v_fmac_f32_e32 v104, 0xbf7ba420, v49
	v_add_f32_e32 v9, v17, v9
	v_fma_f32 v17, 0x3dbcf732, v52, -v102
	v_mul_f32_e32 v87, 0xbf7ba420, v55
	v_mul_f32_e32 v92, 0xbf7ba420, v59
	v_add_f32_e32 v31, v77, v61
	v_add_f32_e32 v61, v81, v65
	v_add_f32_e32 v26, v28, v27
	v_sub_f32_e32 v27, v86, v78
	v_add_f32_e32 v18, v162, v18
	v_fmac_f32_e32 v157, 0x3f3d2fb0, v51
	v_add_f32_e32 v8, v104, v8
	v_fmac_f32_e32 v88, 0x3dbcf732, v51
	v_add_f32_e32 v9, v17, v9
	v_mul_lo_u16 v17, v75, 17
	v_mul_f32_e32 v116, 0xbf59a7d5, v59
	v_mul_f32_e32 v140, 0x3f3d2fb0, v59
	v_add_f32_e32 v30, v61, v31
	v_add_f32_e32 v31, v82, v92
	;; [unrolled: 1-line block ×3, first 2 shown]
	v_sub_f32_e32 v25, v87, v80
	v_fma_f32 v19, 0xbf7ba420, v54, -v166
	v_add_f32_e32 v18, v157, v18
	v_fmac_f32_e32 v155, 0xbf7ba420, v53
	v_fma_f32 v20, 0x3f6eb680, v54, -v97
	v_add_f32_e32 v8, v88, v8
	v_fmac_f32_e32 v107, 0x3f6eb680, v53
	v_and_b32_e32 v17, 0xffff, v17
	v_add_f32_e32 v113, v135, v116
	v_add_f32_e32 v138, v144, v140
	v_fmac_f32_e32 v38, 0x3dbcf732, v55
	v_add_f32_e32 v24, v31, v30
	v_add_f32_e32 v23, v25, v23
	;; [unrolled: 1-line block ×3, first 2 shown]
	v_fma_f32 v19, 0x3ee437d1, v59, -v160
	v_add_f32_e32 v18, v155, v18
	v_fmac_f32_e32 v83, 0x3ee437d1, v55
	v_add_f32_e32 v20, v20, v9
	v_fma_f32 v21, 0xbf1a4643, v59, -v108
	v_add_f32_e32 v22, v107, v8
	v_fmac_f32_e32 v115, 0xbf1a4643, v55
	v_add_lshl_u32 v25, v40, v17, 3
	v_add_f32_e32 v71, v113, v112
	v_add_f32_e32 v119, v138, v119
	v_add_f32_e32 v12, v38, v12
	v_add_f32_e32 v9, v19, v16
	v_add_f32_e32 v8, v83, v18
	v_add_f32_e32 v17, v21, v20
	v_add_f32_e32 v16, v115, v22
	ds_write2_b64 v25, v[4:5], v[23:24] offset1:1
	ds_write2_b64 v25, v[84:85], v[70:71] offset0:2 offset1:3
	ds_write2_b64 v25, v[118:119], v[36:37] offset0:4 offset1:5
	;; [unrolled: 1-line block ×7, first 2 shown]
	ds_write_b64 v25, v[57:58] offset:128
.LBB0_7:
	s_or_b32 exec_lo, exec_lo, s2
	v_mul_u32_u24_e32 v4, 12, v75
	s_load_dwordx4 s[0:3], s[0:1], 0x0
	s_waitcnt lgkmcnt(0)
	s_barrier
	buffer_gl0_inv
	v_lshlrev_b32_e32 v4, 3, v4
	v_add_lshl_u32 v78, v40, v75, 3
	s_clause 0x5
	global_load_dwordx4 v[28:31], v4, s[4:5]
	global_load_dwordx4 v[24:27], v4, s[4:5] offset:16
	global_load_dwordx4 v[16:19], v4, s[4:5] offset:32
	;; [unrolled: 1-line block ×5, first 2 shown]
	ds_read2_b64 v[32:35], v78 offset1:17
	ds_read2_b64 v[41:44], v78 offset0:34 offset1:51
	ds_read2_b64 v[49:52], v78 offset0:68 offset1:85
	;; [unrolled: 1-line block ×5, first 2 shown]
	ds_read_b64 v[53:54], v78 offset:1632
	s_waitcnt vmcnt(5) lgkmcnt(6)
	v_mul_f32_e32 v45, v35, v29
	v_mul_f32_e32 v55, v34, v29
	s_waitcnt lgkmcnt(5)
	v_mul_f32_e32 v48, v42, v31
	v_mul_f32_e32 v71, v41, v31
	s_waitcnt vmcnt(4) lgkmcnt(4)
	v_mul_f32_e32 v47, v49, v27
	s_waitcnt vmcnt(3)
	v_mul_f32_e32 v80, v52, v17
	s_waitcnt vmcnt(0) lgkmcnt(0)
	v_mul_f32_e32 v87, v54, v15
	v_mul_f32_e32 v39, v53, v15
	v_fma_f32 v88, v34, v28, -v45
	v_fmac_f32_e32 v55, v35, v28
	v_mul_f32_e32 v72, v44, v25
	v_mul_f32_e32 v77, v43, v25
	;; [unrolled: 1-line block ×6, first 2 shown]
	v_fma_f32 v89, v41, v30, -v48
	v_fmac_f32_e32 v71, v42, v30
	v_fmac_f32_e32 v47, v50, v26
	v_fma_f32 v48, v51, v16, -v80
	v_fma_f32 v41, v53, v14, -v87
	v_fmac_f32_e32 v39, v54, v14
	v_add_f32_e32 v50, v32, v88
	v_add_f32_e32 v51, v33, v55
	v_mul_f32_e32 v81, v60, v19
	v_mul_f32_e32 v4, v59, v19
	;; [unrolled: 1-line block ×9, first 2 shown]
	v_fma_f32 v72, v43, v24, -v72
	v_fmac_f32_e32 v77, v44, v24
	v_fma_f32 v42, v69, v12, -v86
	v_fmac_f32_e32 v38, v70, v12
	v_add_f32_e32 v53, v55, v39
	v_sub_f32_e32 v54, v88, v41
	v_sub_f32_e32 v55, v55, v39
	v_add_f32_e32 v50, v50, v89
	v_add_f32_e32 v51, v51, v71
	v_mul_f32_e32 v40, v63, v11
	v_fma_f32 v49, v49, v26, -v79
	v_fmac_f32_e32 v46, v52, v16
	v_fma_f32 v34, v59, v18, -v81
	v_fmac_f32_e32 v4, v60, v18
	v_fma_f32 v35, v61, v8, -v82
	v_fmac_f32_e32 v5, v62, v8
	v_fma_f32 v45, v63, v10, -v83
	v_fma_f32 v44, v65, v20, -v84
	v_fmac_f32_e32 v36, v66, v20
	v_fma_f32 v43, v67, v22, -v85
	v_fmac_f32_e32 v37, v68, v22
	v_add_f32_e32 v52, v88, v41
	v_add_f32_e32 v59, v89, v42
	;; [unrolled: 1-line block ×3, first 2 shown]
	v_sub_f32_e32 v61, v89, v42
	v_sub_f32_e32 v62, v71, v38
	v_mul_f32_e32 v71, 0xbeedf032, v55
	v_mul_f32_e32 v83, 0xbeedf032, v54
	;; [unrolled: 1-line block ×12, first 2 shown]
	v_add_f32_e32 v50, v50, v72
	v_add_f32_e32 v51, v51, v77
	v_fmac_f32_e32 v40, v64, v10
	v_add_f32_e32 v63, v72, v43
	v_add_f32_e32 v64, v77, v37
	v_sub_f32_e32 v65, v72, v43
	v_sub_f32_e32 v66, v77, v37
	v_add_f32_e32 v67, v49, v44
	v_add_f32_e32 v68, v47, v36
	v_sub_f32_e32 v69, v49, v44
	v_sub_f32_e32 v70, v47, v36
	v_mul_f32_e32 v92, 0xbf52af12, v62
	v_mul_f32_e32 v93, 0xbf52af12, v61
	v_mul_f32_e32 v94, 0xbf6f5d39, v62
	v_mul_f32_e32 v95, 0xbf6f5d39, v61
	v_mul_f32_e32 v96, 0xbe750f2a, v62
	v_mul_f32_e32 v97, 0xbe750f2a, v61
	v_mul_f32_e32 v98, 0x3f29c268, v62
	v_mul_f32_e32 v99, 0x3f29c268, v61
	v_mul_f32_e32 v100, 0x3f7e222b, v62
	v_mul_f32_e32 v101, 0x3f7e222b, v61
	v_mul_f32_e32 v62, 0x3eedf032, v62
	v_mul_f32_e32 v61, 0x3eedf032, v61
	v_fma_f32 v72, 0x3f62ad3f, v52, -v71
	v_fmamk_f32 v77, v53, 0x3f62ad3f, v83
	v_fmac_f32_e32 v71, 0x3f62ad3f, v52
	v_fma_f32 v83, 0x3f62ad3f, v53, -v83
	v_fma_f32 v132, 0x3f116cb1, v52, -v84
	v_fmamk_f32 v133, v53, 0x3f116cb1, v85
	v_fmac_f32_e32 v84, 0x3f116cb1, v52
	v_fma_f32 v85, 0x3f116cb1, v53, -v85
	v_fma_f32 v134, 0x3df6dbef, v52, -v86
	v_fmamk_f32 v135, v53, 0x3df6dbef, v87
	v_fmac_f32_e32 v86, 0x3df6dbef, v52
	v_fma_f32 v87, 0x3df6dbef, v53, -v87
	v_fma_f32 v136, 0xbeb58ec6, v52, -v88
	v_fmamk_f32 v137, v53, 0xbeb58ec6, v89
	v_fmac_f32_e32 v88, 0xbeb58ec6, v52
	v_fma_f32 v89, 0xbeb58ec6, v53, -v89
	v_fma_f32 v138, 0xbf3f9e67, v52, -v90
	v_fmamk_f32 v139, v53, 0xbf3f9e67, v91
	v_fmac_f32_e32 v90, 0xbf3f9e67, v52
	v_fma_f32 v91, 0xbf3f9e67, v53, -v91
	v_fma_f32 v140, 0xbf788fa5, v52, -v55
	v_fmamk_f32 v141, v53, 0xbf788fa5, v54
	v_fmac_f32_e32 v55, 0xbf788fa5, v52
	v_fma_f32 v52, 0xbf788fa5, v53, -v54
	v_add_f32_e32 v49, v50, v49
	v_add_f32_e32 v47, v51, v47
	;; [unrolled: 1-line block ×4, first 2 shown]
	v_sub_f32_e32 v81, v48, v45
	v_sub_f32_e32 v82, v46, v40
	v_mul_f32_e32 v102, 0xbf7e222b, v66
	v_mul_f32_e32 v103, 0xbf7e222b, v65
	;; [unrolled: 1-line block ×12, first 2 shown]
	v_fma_f32 v53, 0x3f116cb1, v59, -v92
	v_fmac_f32_e32 v92, 0x3f116cb1, v59
	v_fma_f32 v142, 0xbeb58ec6, v59, -v94
	v_fmac_f32_e32 v94, 0xbeb58ec6, v59
	;; [unrolled: 2-line block ×6, first 2 shown]
	v_fma_f32 v59, 0x3f62ad3f, v60, -v61
	v_add_f32_e32 v50, v32, v72
	v_add_f32_e32 v51, v33, v77
	;; [unrolled: 1-line block ×26, first 2 shown]
	v_mul_f32_e32 v112, 0xbf6f5d39, v70
	v_mul_f32_e32 v113, 0xbf6f5d39, v69
	;; [unrolled: 1-line block ×12, first 2 shown]
	v_fmamk_f32 v54, v60, 0x3f116cb1, v93
	v_fma_f32 v93, 0x3f116cb1, v60, -v93
	v_fmamk_f32 v143, v60, 0xbeb58ec6, v95
	v_fma_f32 v95, 0xbeb58ec6, v60, -v95
	v_fmamk_f32 v145, v60, 0xbf788fa5, v97
	v_fma_f32 v97, 0xbf788fa5, v60, -v97
	v_fmamk_f32 v147, v60, 0xbf3f9e67, v99
	v_fma_f32 v99, 0xbf3f9e67, v60, -v99
	v_fmamk_f32 v149, v60, 0x3df6dbef, v101
	v_fma_f32 v101, 0x3df6dbef, v60, -v101
	v_fmamk_f32 v151, v60, 0x3f62ad3f, v61
	v_fma_f32 v60, 0x3df6dbef, v63, -v102
	v_fmac_f32_e32 v102, 0x3df6dbef, v63
	v_fma_f32 v152, 0xbf788fa5, v63, -v104
	v_fmac_f32_e32 v104, 0xbf788fa5, v63
	v_fma_f32 v154, 0xbeb58ec6, v63, -v106
	;; [unrolled: 2-line block ×6, first 2 shown]
	v_add_f32_e32 v32, v62, v32
	v_add_f32_e32 v33, v59, v33
	;; [unrolled: 1-line block ×4, first 2 shown]
	v_fmamk_f32 v61, v64, 0x3df6dbef, v103
	v_fma_f32 v103, 0x3df6dbef, v64, -v103
	v_fmamk_f32 v153, v64, 0xbf788fa5, v105
	v_fma_f32 v105, 0xbf788fa5, v64, -v105
	;; [unrolled: 2-line block ×6, first 2 shown]
	v_fmac_f32_e32 v112, 0xbeb58ec6, v67
	v_fma_f32 v162, 0xbf3f9e67, v67, -v114
	v_fmac_f32_e32 v114, 0xbf3f9e67, v67
	v_fma_f32 v164, 0x3f62ad3f, v67, -v116
	;; [unrolled: 2-line block ×6, first 2 shown]
	v_add_f32_e32 v32, v66, v32
	v_add_f32_e32 v33, v63, v33
	;; [unrolled: 1-line block ×17, first 2 shown]
	v_mul_f32_e32 v123, 0xbf29c268, v81
	v_mul_f32_e32 v125, 0x3f7e222b, v81
	;; [unrolled: 1-line block ×3, first 2 shown]
	v_fmamk_f32 v65, v68, 0xbeb58ec6, v113
	v_fmamk_f32 v163, v68, 0xbf3f9e67, v115
	v_add_f32_e32 v52, v142, v77
	v_add_f32_e32 v55, v95, v85
	;; [unrolled: 1-line block ×14, first 2 shown]
	v_mul_f32_e32 v122, 0xbf29c268, v82
	v_mul_f32_e32 v126, 0xbf52af12, v82
	;; [unrolled: 1-line block ×3, first 2 shown]
	v_fma_f32 v115, 0xbf3f9e67, v68, -v115
	v_fmamk_f32 v167, v68, 0x3df6dbef, v119
	v_fma_f32 v119, 0x3df6dbef, v68, -v119
	v_fmamk_f32 v171, v68, 0x3f116cb1, v69
	v_fmamk_f32 v69, v80, 0xbf3f9e67, v123
	;; [unrolled: 1-line block ×3, first 2 shown]
	v_fma_f32 v176, 0xbf788fa5, v79, -v128
	v_add_f32_e32 v51, v93, v72
	v_add_f32_e32 v72, v145, v133
	;; [unrolled: 1-line block ×17, first 2 shown]
	v_mul_f32_e32 v38, 0xbf6f5d39, v82
	v_mul_f32_e32 v124, 0x3f7e222b, v82
	;; [unrolled: 1-line block ×3, first 2 shown]
	v_fma_f32 v113, 0xbeb58ec6, v68, -v113
	v_fmamk_f32 v165, v68, 0x3f62ad3f, v117
	v_fma_f32 v117, 0x3f62ad3f, v68, -v117
	v_fmamk_f32 v169, v68, 0xbf788fa5, v121
	v_fma_f32 v121, 0xbf788fa5, v68, -v121
	v_fma_f32 v68, 0xbf3f9e67, v79, -v122
	;; [unrolled: 1-line block ×4, first 2 shown]
	v_fmamk_f32 v177, v80, 0xbf788fa5, v129
	v_fmac_f32_e32 v128, 0xbf788fa5, v79
	v_fma_f32 v129, 0xbf788fa5, v80, -v129
	v_add_f32_e32 v89, v149, v137
	v_add_f32_e32 v93, v151, v139
	v_add_f32_e32 v50, v102, v50
	v_add_f32_e32 v54, v104, v54
	v_add_f32_e32 v60, v155, v72
	v_add_f32_e32 v72, v157, v85
	v_add_f32_e32 v87, v111, v91
	v_add_f32_e32 v47, v64, v47
	v_add_f32_e32 v55, v115, v55
	v_add_f32_e32 v59, v164, v59
	v_add_f32_e32 v65, v118, v77
	v_add_f32_e32 v66, v119, v83
	v_add_f32_e32 v71, v168, v84
	v_add_f32_e32 v84, v170, v88
	v_add_f32_e32 v45, v69, v49
	v_add_f32_e32 v49, v173, v53
	v_add_f32_e32 v53, v176, v63
	v_add_f32_e32 v32, v32, v41
	v_fma_f32 v41, 0xbeb58ec6, v79, -v38
	v_sub_f32_e32 v63, v4, v5
	v_mul_f32_e32 v127, 0xbf52af12, v81
	v_mul_f32_e32 v130, 0x3eedf032, v82
	v_fmac_f32_e32 v122, 0xbf3f9e67, v79
	v_fma_f32 v172, 0x3df6dbef, v79, -v124
	v_fmac_f32_e32 v124, 0x3df6dbef, v79
	v_add_f32_e32 v51, v103, v51
	v_add_f32_e32 v85, v159, v89
	;; [unrolled: 1-line block ×13, first 2 shown]
	v_fma_f32 v39, 0x3f62ad3f, v80, -v131
	v_mul_f32_e32 v42, 0xbf6f5d39, v81
	v_add_f32_e32 v65, v41, v84
	v_add_f32_e32 v66, v34, v35
	v_mul_f32_e32 v41, 0xbe750f2a, v63
	v_sub_f32_e32 v68, v34, v35
	v_fma_f32 v123, 0xbf3f9e67, v80, -v123
	v_fmamk_f32 v175, v80, 0x3f116cb1, v127
	v_fma_f32 v178, 0x3f62ad3f, v79, -v130
	v_add_f32_e32 v52, v152, v52
	v_add_f32_e32 v51, v113, v51
	;; [unrolled: 1-line block ×9, first 2 shown]
	v_fmamk_f32 v39, v80, 0xbeb58ec6, v42
	v_fmac_f32_e32 v38, 0xbeb58ec6, v79
	v_fma_f32 v34, 0xbeb58ec6, v80, -v42
	v_add_f32_e32 v69, v4, v5
	v_fma_f32 v4, 0xbf788fa5, v66, -v41
	v_mul_f32_e32 v5, 0xbe750f2a, v68
	v_add_f32_e32 v52, v162, v52
	v_add_f32_e32 v47, v123, v51
	;; [unrolled: 1-line block ×8, first 2 shown]
	v_fmamk_f32 v4, v69, 0xbf788fa5, v5
	v_mul_f32_e32 v38, 0x3eedf032, v63
	v_fmac_f32_e32 v41, 0xbf788fa5, v66
	v_mul_f32_e32 v39, 0x3eedf032, v68
	v_fmac_f32_e32 v126, 0x3f116cb1, v79
	v_add_f32_e32 v90, v100, v90
	v_add_f32_e32 v61, v116, v61
	;; [unrolled: 1-line block ×4, first 2 shown]
	v_fma_f32 v40, 0x3f62ad3f, v66, -v38
	v_add_f32_e32 v4, v41, v46
	v_fmamk_f32 v41, v69, 0x3f62ad3f, v39
	v_mul_f32_e32 v45, 0xbf29c268, v63
	v_fma_f32 v39, 0x3f62ad3f, v69, -v39
	v_mul_f32_e32 v43, 0xbf29c268, v68
	v_fma_f32 v127, 0x3f116cb1, v80, -v127
	v_add_f32_e32 v86, v110, v90
	v_add_f32_e32 v62, v117, v62
	;; [unrolled: 1-line block ×3, first 2 shown]
	v_fma_f32 v5, 0xbf788fa5, v69, -v5
	v_add_f32_e32 v40, v40, v48
	v_fma_f32 v42, 0xbf3f9e67, v66, -v45
	v_add_f32_e32 v39, v39, v36
	v_mul_f32_e32 v46, 0x3f52af12, v63
	v_fmamk_f32 v36, v69, 0xbf3f9e67, v43
	v_fmac_f32_e32 v45, 0xbf3f9e67, v66
	v_mul_f32_e32 v48, 0x3f52af12, v68
	v_add_f32_e32 v77, v120, v86
	v_add_f32_e32 v52, v127, v62
	v_fmac_f32_e32 v130, 0x3f62ad3f, v79
	v_add_f32_e32 v5, v5, v47
	v_fmac_f32_e32 v38, 0x3f62ad3f, v66
	v_add_f32_e32 v41, v41, v49
	v_add_f32_e32 v42, v42, v44
	v_fma_f32 v44, 0xbf3f9e67, v69, -v43
	v_fma_f32 v47, 0x3f116cb1, v66, -v46
	v_add_f32_e32 v43, v36, v51
	v_add_f32_e32 v36, v45, v37
	v_fmamk_f32 v45, v69, 0x3f116cb1, v48
	v_fmac_f32_e32 v46, 0x3f116cb1, v66
	v_mul_f32_e32 v49, 0xbf6f5d39, v63
	v_fmamk_f32 v179, v80, 0x3f62ad3f, v131
	v_add_f32_e32 v62, v130, v77
	v_add_f32_e32 v38, v38, v50
	;; [unrolled: 1-line block ×4, first 2 shown]
	v_fma_f32 v47, 0x3f116cb1, v69, -v48
	v_mul_f32_e32 v52, 0xbf6f5d39, v68
	v_add_f32_e32 v45, v45, v54
	v_add_f32_e32 v50, v46, v55
	v_fma_f32 v46, 0xbeb58ec6, v66, -v49
	v_fmac_f32_e32 v49, 0xbeb58ec6, v66
	v_mul_f32_e32 v54, 0x3f7e222b, v63
	v_mul_f32_e32 v53, 0x3f7e222b, v68
	v_add_f32_e32 v61, v179, v72
	v_add_f32_e32 v51, v47, v59
	v_fmamk_f32 v47, v69, 0xbeb58ec6, v52
	v_add_f32_e32 v46, v46, v60
	v_add_f32_e32 v48, v49, v62
	v_fma_f32 v49, 0x3df6dbef, v66, -v54
	v_fma_f32 v59, 0xbeb58ec6, v69, -v52
	v_fmamk_f32 v55, v69, 0x3df6dbef, v53
	v_fmac_f32_e32 v54, 0x3df6dbef, v66
	v_fma_f32 v60, 0x3df6dbef, v69, -v53
	v_add_f32_e32 v47, v47, v61
	v_add_f32_e32 v52, v49, v65
	v_lshl_add_u32 v77, v75, 3, v76
	v_add_f32_e32 v53, v55, v71
	v_add_f32_e32 v54, v54, v70
	;; [unrolled: 1-line block ×4, first 2 shown]
	ds_write2_b64 v77, v[32:33], v[34:35] offset1:17
	ds_write2_b64 v77, v[40:41], v[42:43] offset0:34 offset1:51
	ds_write2_b64 v77, v[44:45], v[46:47] offset0:68 offset1:85
	;; [unrolled: 1-line block ×5, first 2 shown]
	ds_write_b64 v77, v[4:5] offset:1632
	s_waitcnt lgkmcnt(0)
	s_barrier
	buffer_gl0_inv
	s_and_saveexec_b32 s8, vcc_lo
	s_cbranch_execz .LBB0_9
; %bb.8:
	s_add_u32 s4, s6, 0x6e8
	s_addc_u32 s5, s7, 0
	s_clause 0x10
	global_load_dwordx2 v[71:72], v74, s[6:7] offset:1768
	global_load_dwordx2 v[99:100], v74, s[4:5] offset:104
	;; [unrolled: 1-line block ×17, first 2 shown]
	ds_read2_b64 v[59:62], v77 offset1:13
	ds_read2_b64 v[63:66], v77 offset0:26 offset1:39
	ds_read2_b64 v[67:70], v77 offset0:52 offset1:65
	;; [unrolled: 1-line block ×7, first 2 shown]
	ds_read_b64 v[131:132], v77 offset:1664
	s_waitcnt vmcnt(16) lgkmcnt(8)
	v_mul_f32_e32 v133, v60, v72
	v_mul_f32_e32 v134, v59, v72
	s_waitcnt vmcnt(15)
	v_mul_f32_e32 v135, v62, v100
	v_mul_f32_e32 v72, v61, v100
	s_waitcnt vmcnt(14) lgkmcnt(7)
	v_mul_f32_e32 v136, v64, v102
	v_mul_f32_e32 v100, v63, v102
	s_waitcnt vmcnt(13)
	v_mul_f32_e32 v137, v66, v104
	v_mul_f32_e32 v102, v65, v104
	;; [unrolled: 6-line block ×8, first 2 shown]
	s_waitcnt vmcnt(0) lgkmcnt(0)
	v_mul_f32_e32 v150, v132, v130
	v_mul_f32_e32 v128, v131, v130
	v_fma_f32 v133, v59, v71, -v133
	v_fmac_f32_e32 v134, v60, v71
	v_fma_f32 v71, v61, v99, -v135
	v_fmac_f32_e32 v72, v62, v99
	;; [unrolled: 2-line block ×17, first 2 shown]
	ds_write2_b64 v77, v[133:134], v[71:72] offset1:13
	ds_write2_b64 v77, v[99:100], v[101:102] offset0:26 offset1:39
	ds_write2_b64 v77, v[103:104], v[105:106] offset0:52 offset1:65
	;; [unrolled: 1-line block ×7, first 2 shown]
	ds_write_b64 v77, v[127:128] offset:1664
.LBB0_9:
	s_or_b32 exec_lo, exec_lo, s8
	s_waitcnt lgkmcnt(0)
	s_barrier
	buffer_gl0_inv
	s_and_saveexec_b32 s4, vcc_lo
	s_cbranch_execz .LBB0_11
; %bb.10:
	ds_read2_b64 v[32:35], v77 offset1:13
	ds_read2_b64 v[40:43], v77 offset0:26 offset1:39
	ds_read2_b64 v[44:47], v77 offset0:52 offset1:65
	;; [unrolled: 1-line block ×7, first 2 shown]
	ds_read_b64 v[57:58], v77 offset:1664
.LBB0_11:
	s_or_b32 exec_lo, exec_lo, s4
	s_waitcnt lgkmcnt(0)
	s_barrier
	buffer_gl0_inv
	s_and_saveexec_b32 s4, vcc_lo
	s_cbranch_execz .LBB0_13
; %bb.12:
	v_add_f32_e32 v201, v58, v35
	v_sub_f32_e32 v84, v34, v57
	v_add_f32_e32 v200, v3, v41
	v_sub_f32_e32 v80, v40, v2
	v_add_f32_e32 v199, v1, v43
	v_mul_f32_e32 v101, 0xbf7ba420, v201
	v_sub_f32_e32 v81, v42, v0
	v_mul_f32_e32 v96, 0x3f6eb680, v200
	v_add_f32_e32 v72, v7, v45
	v_mul_f32_e32 v97, 0xbf59a7d5, v199
	v_fmamk_f32 v59, v84, 0x3e3c28d5, v101
	v_sub_f32_e32 v79, v44, v6
	v_fmamk_f32 v60, v80, 0xbeb8f4ab, v96
	v_add_f32_e32 v198, v5, v47
	v_mul_f32_e32 v95, 0x3f3d2fb0, v72
	v_add_f32_e32 v59, v33, v59
	v_fmamk_f32 v61, v81, 0x3f06c442, v97
	v_sub_f32_e32 v154, v35, v58
	v_sub_f32_e32 v82, v46, v4
	v_add_f32_e32 v71, v39, v53
	v_add_f32_e32 v59, v60, v59
	v_add_f32_e32 v86, v57, v34
	v_mul_f32_e32 v98, 0xbf1a4643, v198
	v_fmamk_f32 v60, v79, 0xbf2c7751, v95
	v_sub_f32_e32 v158, v41, v3
	v_add_f32_e32 v59, v61, v59
	v_mul_f32_e32 v105, 0xbe3c28d5, v154
	v_sub_f32_e32 v83, v52, v38
	v_mul_f32_e32 v99, 0x3ee437d1, v71
	v_fmamk_f32 v61, v82, 0x3f4c4adb, v98
	v_add_f32_e32 v59, v60, v59
	v_add_f32_e32 v87, v2, v40
	v_mul_f32_e32 v104, 0x3eb8f4ab, v158
	v_fmamk_f32 v62, v86, 0xbf7ba420, v105
	v_sub_f32_e32 v163, v43, v1
	v_fmamk_f32 v60, v83, 0xbf65296c, v99
	v_add_f32_e32 v59, v61, v59
	v_fmamk_f32 v61, v87, 0x3f6eb680, v104
	v_add_f32_e32 v62, v32, v62
	v_add_f32_e32 v89, v0, v42
	v_mul_f32_e32 v107, 0xbf06c442, v163
	v_sub_f32_e32 v171, v45, v7
	v_add_f32_e32 v59, v60, v59
	v_add_f32_e32 v60, v61, v62
	;; [unrolled: 1-line block ×3, first 2 shown]
	v_fmamk_f32 v61, v89, 0xbf59a7d5, v107
	v_mul_f32_e32 v103, 0x3f2c7751, v171
	v_sub_f32_e32 v186, v47, v5
	v_add_f32_e32 v165, v37, v55
	v_add_f32_e32 v91, v4, v46
	;; [unrolled: 1-line block ×3, first 2 shown]
	v_fmamk_f32 v61, v90, 0x3f3d2fb0, v103
	v_mul_f32_e32 v106, 0xbf4c4adb, v186
	v_mul_f32_e32 v100, 0xbe8c1d8e, v165
	v_sub_f32_e32 v85, v54, v36
	v_sub_f32_e32 v188, v53, v39
	v_add_f32_e32 v60, v61, v60
	v_fmamk_f32 v61, v91, 0xbf1a4643, v106
	v_mul_f32_e32 v120, 0xbf59a7d5, v201
	v_fmamk_f32 v62, v85, 0x3f763a35, v100
	v_add_f32_e32 v177, v51, v49
	v_add_f32_e32 v93, v38, v52
	v_mul_f32_e32 v110, 0x3f65296c, v188
	v_add_f32_e32 v60, v61, v60
	v_sub_f32_e32 v196, v55, v37
	v_fmamk_f32 v61, v84, 0x3f06c442, v120
	v_mul_f32_e32 v121, 0x3ee437d1, v200
	v_add_f32_e32 v59, v62, v59
	v_mul_f32_e32 v102, 0x3dbcf732, v177
	v_sub_f32_e32 v88, v48, v50
	v_fmamk_f32 v62, v93, 0x3ee437d1, v110
	v_add_f32_e32 v92, v36, v54
	v_mul_f32_e32 v111, 0xbf763a35, v196
	v_add_f32_e32 v61, v33, v61
	v_fmamk_f32 v63, v80, 0xbf65296c, v121
	v_mul_f32_e32 v122, 0x3dbcf732, v199
	v_fmamk_f32 v64, v88, 0xbf7ee86f, v102
	v_add_f32_e32 v62, v62, v60
	v_fmamk_f32 v65, v92, 0xbe8c1d8e, v111
	v_add_f32_e32 v61, v63, v61
	v_fmamk_f32 v63, v81, 0x3f7ee86f, v122
	v_mul_f32_e32 v123, 0xbf1a4643, v72
	v_add_f32_e32 v60, v64, v59
	v_add_f32_e32 v59, v65, v62
	v_sub_f32_e32 v207, v49, v51
	v_add_f32_e32 v61, v63, v61
	v_fmamk_f32 v62, v79, 0xbf4c4adb, v123
	v_mul_f32_e32 v112, 0x3f6eb680, v198
	v_mul_f32_e32 v131, 0xbf06c442, v154
	v_add_f32_e32 v94, v50, v48
	v_mul_f32_e32 v114, 0x3f7ee86f, v207
	v_add_f32_e32 v61, v62, v61
	v_fmamk_f32 v62, v82, 0x3eb8f4ab, v112
	v_mul_f32_e32 v108, 0xbf7ba420, v71
	v_fmamk_f32 v64, v86, 0xbf59a7d5, v131
	v_mul_f32_e32 v132, 0x3f65296c, v158
	v_fmamk_f32 v63, v94, 0x3dbcf732, v114
	v_add_f32_e32 v61, v62, v61
	v_fmamk_f32 v62, v83, 0x3e3c28d5, v108
	v_mul_f32_e32 v109, 0x3f3d2fb0, v165
	v_add_f32_e32 v64, v32, v64
	v_fmamk_f32 v65, v87, 0x3ee437d1, v132
	v_mul_f32_e32 v118, 0xbf7ee86f, v163
	v_add_f32_e32 v61, v62, v61
	v_fmamk_f32 v62, v85, 0xbf2c7751, v109
	v_add_f32_e32 v59, v63, v59
	v_add_f32_e32 v63, v65, v64
	v_fmamk_f32 v64, v89, 0x3dbcf732, v118
	v_mul_f32_e32 v119, 0x3f4c4adb, v171
	v_mul_f32_e32 v140, 0xbf1a4643, v201
	v_add_f32_e32 v61, v62, v61
	v_mul_f32_e32 v113, 0xbeb8f4ab, v186
	v_add_f32_e32 v62, v64, v63
	v_fmamk_f32 v63, v90, 0xbf1a4643, v119
	v_fmamk_f32 v65, v84, 0x3f4c4adb, v140
	v_mul_f32_e32 v141, 0xbe8c1d8e, v200
	v_mul_f32_e32 v116, 0xbe8c1d8e, v177
	;; [unrolled: 1-line block ×3, first 2 shown]
	v_add_f32_e32 v62, v63, v62
	v_fmamk_f32 v63, v91, 0x3f6eb680, v113
	v_add_f32_e32 v65, v33, v65
	v_fmamk_f32 v66, v80, 0xbf763a35, v141
	v_mul_f32_e32 v125, 0x3f6eb680, v199
	v_fmamk_f32 v64, v88, 0x3f763a35, v116
	v_add_f32_e32 v62, v63, v62
	v_fmamk_f32 v63, v93, 0xbf7ba420, v115
	v_add_f32_e32 v65, v66, v65
	v_fmamk_f32 v66, v81, 0x3eb8f4ab, v125
	v_mul_f32_e32 v126, 0xbf59a7d5, v72
	v_mul_f32_e32 v117, 0x3f2c7751, v196
	v_add_f32_e32 v63, v63, v62
	v_add_f32_e32 v62, v64, v61
	;; [unrolled: 1-line block ×3, first 2 shown]
	v_fmamk_f32 v64, v79, 0x3f06c442, v126
	v_mul_f32_e32 v129, 0x3dbcf732, v198
	v_mul_f32_e32 v147, 0xbf4c4adb, v154
	v_fmamk_f32 v67, v92, 0x3f3d2fb0, v117
	v_mul_f32_e32 v124, 0xbf763a35, v207
	v_add_f32_e32 v61, v64, v61
	v_fmamk_f32 v64, v82, 0xbf7ee86f, v129
	v_mul_f32_e32 v139, 0x3f3d2fb0, v71
	v_fmamk_f32 v66, v86, 0xbf1a4643, v147
	v_mul_f32_e32 v148, 0x3f763a35, v158
	v_add_f32_e32 v63, v67, v63
	v_fmamk_f32 v65, v94, 0xbe8c1d8e, v124
	v_add_f32_e32 v61, v64, v61
	v_fmamk_f32 v64, v83, 0x3f2c7751, v139
	;; [unrolled: 2-line block ×3, first 2 shown]
	v_mul_f32_e32 v149, 0xbeb8f4ab, v163
	v_mul_f32_e32 v133, 0xbf7ba420, v165
	v_add_f32_e32 v64, v64, v61
	v_add_f32_e32 v61, v65, v63
	v_add_f32_e32 v63, v67, v66
	v_fmamk_f32 v65, v89, 0x3f6eb680, v149
	v_mul_f32_e32 v150, 0xbf06c442, v171
	v_mul_f32_e32 v146, 0xbe8c1d8e, v201
	v_fmamk_f32 v68, v85, 0x3e3c28d5, v133
	v_mul_f32_e32 v162, 0x3f7ee86f, v186
	v_add_f32_e32 v63, v65, v63
	v_fmamk_f32 v65, v90, 0xbf59a7d5, v150
	v_fmamk_f32 v67, v84, 0x3f763a35, v146
	v_mul_f32_e32 v134, 0xbf59a7d5, v200
	v_add_f32_e32 v64, v68, v64
	v_mul_f32_e32 v137, 0x3ee437d1, v177
	v_add_f32_e32 v63, v65, v63
	v_fmamk_f32 v65, v91, 0x3dbcf732, v162
	v_mul_f32_e32 v155, 0xbf2c7751, v188
	v_add_f32_e32 v67, v33, v67
	v_fmamk_f32 v68, v80, 0xbf06c442, v134
	v_mul_f32_e32 v138, 0x3f3d2fb0, v199
	v_fmamk_f32 v66, v88, 0xbf65296c, v137
	v_add_f32_e32 v63, v65, v63
	v_fmamk_f32 v65, v93, 0x3f3d2fb0, v155
	v_mul_f32_e32 v143, 0xbe3c28d5, v196
	v_add_f32_e32 v67, v68, v67
	v_fmamk_f32 v68, v81, 0xbf2c7751, v138
	v_mul_f32_e32 v127, 0x3ee437d1, v72
	v_add_f32_e32 v63, v65, v63
	v_fmamk_f32 v65, v92, 0xbf7ba420, v143
	v_add_f32_e32 v64, v66, v64
	v_add_f32_e32 v66, v68, v67
	v_fmamk_f32 v67, v79, 0x3f65296c, v127
	v_mul_f32_e32 v128, 0xbf7ba420, v198
	v_mul_f32_e32 v164, 0xbf763a35, v154
	v_add_f32_e32 v63, v65, v63
	v_mul_f32_e32 v145, 0x3f65296c, v207
	v_add_f32_e32 v65, v67, v66
	v_fmamk_f32 v66, v82, 0x3e3c28d5, v128
	v_mul_f32_e32 v135, 0x3dbcf732, v71
	v_fmamk_f32 v68, v86, 0xbe8c1d8e, v164
	v_mul_f32_e32 v166, 0x3f06c442, v158
	v_fmamk_f32 v67, v94, 0x3ee437d1, v145
	v_add_f32_e32 v65, v66, v65
	v_fmamk_f32 v66, v83, 0xbf7ee86f, v135
	v_mul_f32_e32 v136, 0x3f6eb680, v165
	v_add_f32_e32 v68, v32, v68
	v_fmamk_f32 v69, v87, 0xbf59a7d5, v166
	v_mul_f32_e32 v167, 0x3f2c7751, v163
	v_add_f32_e32 v65, v66, v65
	v_fmamk_f32 v66, v85, 0x3eb8f4ab, v136
	v_add_f32_e32 v63, v67, v63
	v_add_f32_e32 v67, v69, v68
	v_fmamk_f32 v68, v89, 0x3f3d2fb0, v167
	v_mul_f32_e32 v153, 0xbf65296c, v171
	v_mul_f32_e32 v182, 0x3dbcf732, v201
	v_add_f32_e32 v65, v66, v65
	v_mul_f32_e32 v172, 0xbe3c28d5, v186
	v_add_f32_e32 v66, v68, v67
	v_fmamk_f32 v67, v90, 0x3ee437d1, v153
	v_fmamk_f32 v69, v84, 0x3f7ee86f, v182
	v_mul_f32_e32 v183, 0xbf7ba420, v200
	v_mul_f32_e32 v130, 0xbf1a4643, v177
	v_mul_f32_e32 v173, 0x3f7ee86f, v188
	v_add_f32_e32 v66, v67, v66
	v_fmamk_f32 v67, v91, 0xbf7ba420, v172
	v_add_f32_e32 v69, v33, v69
	v_fmamk_f32 v70, v80, 0x3e3c28d5, v183
	v_mul_f32_e32 v184, 0xbe8c1d8e, v199
	v_fmamk_f32 v68, v88, 0x3f4c4adb, v130
	v_add_f32_e32 v66, v67, v66
	v_fmamk_f32 v67, v93, 0x3dbcf732, v173
	v_add_f32_e32 v69, v70, v69
	v_fmamk_f32 v70, v81, 0xbf763a35, v184
	v_mul_f32_e32 v159, 0x3f6eb680, v72
	v_mul_f32_e32 v152, 0xbeb8f4ab, v196
	v_add_f32_e32 v67, v67, v66
	v_add_f32_e32 v66, v68, v65
	;; [unrolled: 1-line block ×3, first 2 shown]
	v_fmamk_f32 v68, v79, 0xbeb8f4ab, v159
	v_mul_f32_e32 v160, 0x3ee437d1, v198
	v_mul_f32_e32 v189, 0xbf7ee86f, v154
	v_fmamk_f32 v142, v92, 0x3f6eb680, v152
	v_mul_f32_e32 v156, 0xbf4c4adb, v207
	v_add_f32_e32 v65, v68, v65
	v_fmamk_f32 v68, v82, 0x3f65296c, v160
	v_mul_f32_e32 v179, 0xbf59a7d5, v71
	v_fmamk_f32 v70, v86, 0x3dbcf732, v189
	v_mul_f32_e32 v190, 0xbe3c28d5, v158
	v_add_f32_e32 v67, v142, v67
	v_fmamk_f32 v69, v94, 0xbf1a4643, v156
	v_add_f32_e32 v65, v68, v65
	v_fmamk_f32 v68, v83, 0x3f06c442, v179
	v_mul_f32_e32 v161, 0xbf1a4643, v165
	v_add_f32_e32 v70, v32, v70
	v_fmamk_f32 v142, v87, 0xbf7ba420, v190
	v_mul_f32_e32 v191, 0x3f763a35, v163
	v_add_f32_e32 v68, v68, v65
	v_fmamk_f32 v144, v85, 0xbf4c4adb, v161
	v_add_f32_e32 v65, v69, v67
	v_add_f32_e32 v67, v142, v70
	v_fmamk_f32 v69, v89, 0xbe8c1d8e, v191
	v_mul_f32_e32 v187, 0x3eb8f4ab, v171
	v_mul_f32_e32 v193, 0x3ee437d1, v201
	v_add_f32_e32 v68, v144, v68
	v_mul_f32_e32 v192, 0xbf65296c, v186
	v_add_f32_e32 v67, v69, v67
	v_fmamk_f32 v69, v90, 0x3f6eb680, v187
	v_fmamk_f32 v144, v84, 0x3f65296c, v193
	v_mul_f32_e32 v169, 0xbf1a4643, v200
	v_mul_f32_e32 v142, 0x3f3d2fb0, v177
	;; [unrolled: 1-line block ×3, first 2 shown]
	v_add_f32_e32 v67, v69, v67
	v_fmamk_f32 v69, v91, 0x3ee437d1, v192
	v_add_f32_e32 v144, v33, v144
	v_fmamk_f32 v151, v80, 0x3f4c4adb, v169
	v_mul_f32_e32 v175, 0xbf7ba420, v199
	v_fmamk_f32 v70, v88, 0xbf2c7751, v142
	v_add_f32_e32 v67, v69, v67
	v_fmamk_f32 v69, v93, 0xbf59a7d5, v168
	v_mul_f32_e32 v174, 0x3f4c4adb, v196
	v_add_f32_e32 v144, v151, v144
	v_fmamk_f32 v151, v81, 0xbe3c28d5, v175
	v_mul_f32_e32 v176, 0xbe8c1d8e, v72
	v_add_f32_e32 v67, v69, v67
	v_fmamk_f32 v69, v92, 0xbf1a4643, v174
	v_add_f32_e32 v68, v70, v68
	v_add_f32_e32 v70, v151, v144
	v_fmamk_f32 v144, v79, 0xbf763a35, v176
	v_mul_f32_e32 v180, 0x3f3d2fb0, v198
	v_mul_f32_e32 v205, 0xbf65296c, v154
	v_add_f32_e32 v67, v69, v67
	v_mul_f32_e32 v178, 0x3f2c7751, v207
	v_add_f32_e32 v69, v144, v70
	v_fmamk_f32 v70, v82, 0xbf2c7751, v180
	v_mul_f32_e32 v185, 0x3f6eb680, v71
	v_fmamk_f32 v151, v86, 0x3ee437d1, v205
	v_mul_f32_e32 v208, 0xbf4c4adb, v158
	v_fmamk_f32 v144, v94, 0x3f3d2fb0, v178
	v_add_f32_e32 v69, v70, v69
	v_fmamk_f32 v70, v83, 0x3eb8f4ab, v185
	v_mul_f32_e32 v181, 0x3dbcf732, v165
	v_add_f32_e32 v151, v32, v151
	v_fmamk_f32 v157, v87, 0xbf1a4643, v208
	v_mul_f32_e32 v212, 0x3e3c28d5, v163
	v_add_f32_e32 v35, v35, v33
	v_add_f32_e32 v69, v70, v69
	v_fmamk_f32 v70, v85, 0x3f7ee86f, v181
	v_add_f32_e32 v67, v144, v67
	v_add_f32_e32 v144, v157, v151
	v_fmamk_f32 v157, v89, 0xbf7ba420, v212
	v_mul_f32_e32 v213, 0x3f763a35, v171
	v_mul_f32_e32 v209, 0x3f3d2fb0, v201
	v_add_f32_e32 v35, v41, v35
	v_add_f32_e32 v34, v34, v32
	;; [unrolled: 1-line block ×4, first 2 shown]
	v_fmamk_f32 v144, v90, 0xbe8c1d8e, v213
	v_mul_f32_e32 v215, 0x3f2c7751, v186
	v_fmamk_f32 v170, v84, 0x3f2c7751, v209
	v_mul_f32_e32 v210, 0x3dbcf732, v200
	v_add_f32_e32 v35, v43, v35
	v_add_f32_e32 v34, v40, v34
	v_mul_f32_e32 v151, 0xbf59a7d5, v177
	v_add_f32_e32 v70, v144, v70
	v_fmamk_f32 v144, v91, 0x3f3d2fb0, v215
	v_mul_f32_e32 v216, 0xbeb8f4ab, v188
	v_add_f32_e32 v170, v33, v170
	v_fmamk_f32 v195, v80, 0x3f7ee86f, v210
	v_mul_f32_e32 v194, 0xbf1a4643, v199
	v_add_f32_e32 v35, v45, v35
	v_add_f32_e32 v34, v42, v34
	v_fmamk_f32 v157, v88, 0x3f06c442, v151
	v_add_f32_e32 v70, v144, v70
	v_fmamk_f32 v144, v93, 0x3f6eb680, v216
	v_mul_f32_e32 v217, 0xbf7ee86f, v196
	v_add_f32_e32 v170, v195, v170
	v_fmamk_f32 v197, v81, 0x3f4c4adb, v194
	v_mul_f32_e32 v195, 0xbf7ba420, v72
	v_add_f32_e32 v35, v47, v35
	v_add_f32_e32 v34, v44, v34
	v_add_f32_e32 v144, v144, v70
	v_fmamk_f32 v202, v92, 0x3dbcf732, v217
	v_add_f32_e32 v70, v157, v69
	v_add_f32_e32 v69, v197, v170
	v_fmamk_f32 v157, v79, 0x3e3c28d5, v195
	v_mul_f32_e32 v197, 0xbf59a7d5, v198
	v_mul_f32_e32 v218, 0xbf2c7751, v154
	v_add_f32_e32 v35, v53, v35
	v_add_f32_e32 v34, v46, v34
	v_add_f32_e32 v144, v202, v144
	v_mul_f32_e32 v202, 0xbf06c442, v207
	v_add_f32_e32 v69, v157, v69
	v_fmamk_f32 v157, v82, 0xbf06c442, v197
	v_mul_f32_e32 v170, 0xbe8c1d8e, v71
	v_fmamk_f32 v204, v86, 0x3f3d2fb0, v218
	v_mul_f32_e32 v219, 0xbf7ee86f, v158
	v_add_f32_e32 v35, v55, v35
	v_add_f32_e32 v34, v52, v34
	v_fmamk_f32 v203, v94, 0xbf59a7d5, v202
	v_add_f32_e32 v69, v157, v69
	v_fmamk_f32 v206, v83, 0xbf763a35, v170
	v_mul_f32_e32 v157, 0x3ee437d1, v165
	v_add_f32_e32 v204, v32, v204
	v_fmamk_f32 v211, v87, 0x3dbcf732, v219
	v_mul_f32_e32 v220, 0xbf4c4adb, v163
	v_add_f32_e32 v35, v49, v35
	v_add_f32_e32 v34, v54, v34
	;; [unrolled: 1-line block ×3, first 2 shown]
	v_fmamk_f32 v221, v85, 0xbf65296c, v157
	v_add_f32_e32 v69, v203, v144
	v_add_f32_e32 v204, v211, v204
	v_fmamk_f32 v211, v89, 0xbf1a4643, v220
	v_mul_f32_e32 v214, 0xbe3c28d5, v171
	v_mul_f32_e32 v203, 0x3f6eb680, v201
	v_add_f32_e32 v35, v51, v35
	v_add_f32_e32 v34, v48, v34
	;; [unrolled: 1-line block ×4, first 2 shown]
	v_fmamk_f32 v211, v90, 0xbf7ba420, v214
	v_mul_f32_e32 v201, 0x3f06c442, v186
	v_fmamk_f32 v223, v84, 0x3eb8f4ab, v203
	v_mul_f32_e32 v204, 0x3f3d2fb0, v200
	v_add_f32_e32 v35, v37, v35
	v_add_f32_e32 v34, v50, v34
	v_mul_f32_e32 v144, 0x3f6eb680, v177
	v_add_f32_e32 v211, v211, v206
	v_fmamk_f32 v224, v91, 0xbf59a7d5, v201
	v_mul_f32_e32 v200, 0x3f763a35, v188
	v_add_f32_e32 v223, v33, v223
	v_fmamk_f32 v225, v80, 0x3f2c7751, v204
	v_mul_f32_e32 v206, 0x3ee437d1, v199
	v_add_f32_e32 v39, v39, v35
	v_add_f32_e32 v34, v36, v34
	v_fmamk_f32 v222, v88, 0xbeb8f4ab, v144
	v_add_f32_e32 v224, v224, v211
	v_fmamk_f32 v226, v93, 0xbe8c1d8e, v200
	;; [unrolled: 2-line block ×3, first 2 shown]
	v_mul_f32_e32 v211, 0x3dbcf732, v72
	v_add_f32_e32 v5, v5, v39
	v_add_f32_e32 v34, v38, v34
	;; [unrolled: 1-line block ×5, first 2 shown]
	v_fmamk_f32 v224, v79, 0x3f7ee86f, v211
	v_mul_f32_e32 v198, 0xbe8c1d8e, v198
	v_mul_f32_e32 v154, 0xbeb8f4ab, v154
	v_add_f32_e32 v5, v7, v5
	v_add_f32_e32 v4, v4, v34
	v_fmac_f32_e32 v101, 0xbe3c28d5, v84
	v_add_f32_e32 v223, v224, v223
	v_fmamk_f32 v224, v82, 0x3f763a35, v198
	v_mul_f32_e32 v41, 0xbf1a4643, v71
	v_fmamk_f32 v43, v86, 0x3f6eb680, v154
	v_mul_f32_e32 v45, 0xbf2c7751, v158
	v_add_f32_e32 v1, v1, v5
	v_add_f32_e32 v4, v6, v4
	v_add_f32_e32 v5, v33, v101
	v_fmac_f32_e32 v96, 0x3eb8f4ab, v80
	v_add_f32_e32 v223, v224, v223
	v_fmamk_f32 v40, v83, 0x3f4c4adb, v41
	v_add_f32_e32 v43, v32, v43
	v_fmamk_f32 v44, v87, 0x3f3d2fb0, v45
	v_mul_f32_e32 v46, 0xbf65296c, v163
	v_fma_f32 v6, 0xbf7ba420, v86, -v105
	v_add_f32_e32 v1, v3, v1
	v_add_f32_e32 v0, v0, v4
	;; [unrolled: 1-line block ×3, first 2 shown]
	v_fmac_f32_e32 v97, 0xbf06c442, v81
	v_add_f32_e32 v42, v40, v223
	v_mul_f32_e32 v40, 0xbf59a7d5, v165
	v_add_f32_e32 v43, v44, v43
	v_fmamk_f32 v44, v89, 0x3ee437d1, v46
	v_mul_f32_e32 v52, 0xbf7ee86f, v171
	v_add_f32_e32 v4, v32, v6
	v_fma_f32 v5, 0x3f6eb680, v87, -v104
	v_add_f32_e32 v0, v2, v0
	v_add_f32_e32 v2, v97, v3
	v_fmac_f32_e32 v95, 0x3f2c7751, v79
	v_fmamk_f32 v47, v85, 0x3f06c442, v40
	v_add_f32_e32 v43, v44, v43
	v_fmamk_f32 v44, v90, 0x3dbcf732, v52
	v_mul_f32_e32 v49, 0xbf763a35, v186
	v_add_f32_e32 v3, v5, v4
	v_fma_f32 v4, 0xbf59a7d5, v89, -v107
	v_fmac_f32_e32 v120, 0xbf06c442, v84
	v_add_f32_e32 v2, v95, v2
	v_fmac_f32_e32 v98, 0xbf4c4adb, v82
	v_add_f32_e32 v47, v47, v42
	v_mul_f32_e32 v42, 0xbf7ba420, v177
	v_add_f32_e32 v43, v44, v43
	v_fmamk_f32 v44, v91, 0xbe8c1d8e, v49
	v_mul_f32_e32 v48, 0xbf4c4adb, v188
	v_add_f32_e32 v3, v4, v3
	v_fma_f32 v4, 0x3f3d2fb0, v90, -v103
	v_add_f32_e32 v5, v33, v120
	v_fmac_f32_e32 v121, 0x3f65296c, v80
	v_add_f32_e32 v2, v98, v2
	v_fmac_f32_e32 v99, 0x3f65296c, v83
	v_fmamk_f32 v37, v88, 0x3e3c28d5, v42
	v_add_f32_e32 v43, v44, v43
	v_fmamk_f32 v36, v93, 0xbf1a4643, v48
	v_mul_f32_e32 v50, 0xbf06c442, v196
	v_add_f32_e32 v3, v4, v3
	v_fma_f32 v4, 0xbf1a4643, v91, -v106
	v_add_f32_e32 v5, v121, v5
	v_fmac_f32_e32 v122, 0xbf7ee86f, v81
	v_add_f32_e32 v2, v99, v2
	v_fmac_f32_e32 v100, 0xbf763a35, v85
	v_add_f32_e32 v35, v37, v47
	v_add_f32_e32 v36, v36, v43
	v_fmamk_f32 v37, v92, 0xbf59a7d5, v50
	v_mul_f32_e32 v47, 0xbe3c28d5, v207
	v_add_f32_e32 v3, v4, v3
	v_fma_f32 v4, 0x3ee437d1, v93, -v110
	v_add_f32_e32 v5, v122, v5
	v_fmac_f32_e32 v123, 0x3f4c4adb, v79
	v_add_f32_e32 v2, v100, v2
	v_fmac_f32_e32 v102, 0x3f7ee86f, v88
	v_add_f32_e32 v7, v37, v36
	v_fmamk_f32 v34, v94, 0xbf7ba420, v47
	v_add_f32_e32 v4, v4, v3
	v_fma_f32 v6, 0xbe8c1d8e, v92, -v111
	v_add_f32_e32 v5, v123, v5
	v_fmac_f32_e32 v112, 0xbeb8f4ab, v82
	v_add_f32_e32 v3, v102, v2
	v_fma_f32 v2, 0xbf59a7d5, v86, -v131
	v_add_f32_e32 v34, v34, v7
	v_add_f32_e32 v4, v6, v4
	v_fma_f32 v6, 0x3dbcf732, v94, -v114
	v_add_f32_e32 v5, v112, v5
	v_fmac_f32_e32 v108, 0xbe3c28d5, v83
	v_add_f32_e32 v7, v32, v2
	v_fma_f32 v36, 0x3ee437d1, v87, -v132
	v_fmac_f32_e32 v140, 0xbf4c4adb, v84
	v_add_f32_e32 v2, v6, v4
	v_add_f32_e32 v4, v108, v5
	v_fmac_f32_e32 v109, 0x3f2c7751, v85
	v_add_f32_e32 v5, v36, v7
	v_fma_f32 v6, 0x3dbcf732, v89, -v118
	v_add_f32_e32 v7, v33, v140
	v_fmac_f32_e32 v141, 0x3f763a35, v80
	v_add_f32_e32 v4, v109, v4
	v_fmac_f32_e32 v116, 0xbf763a35, v88
	v_add_f32_e32 v6, v6, v5
	v_fma_f32 v36, 0xbf1a4643, v90, -v119
	v_add_f32_e32 v7, v141, v7
	v_fmac_f32_e32 v125, 0xbeb8f4ab, v81
	v_add_f32_e32 v5, v116, v4
	v_fma_f32 v4, 0xbf1a4643, v86, -v147
	v_add_f32_e32 v6, v36, v6
	v_fma_f32 v36, 0x3f6eb680, v91, -v113
	v_add_f32_e32 v7, v125, v7
	v_fmac_f32_e32 v126, 0xbf06c442, v79
	v_add_f32_e32 v4, v32, v4
	v_fma_f32 v37, 0xbe8c1d8e, v87, -v148
	v_add_f32_e32 v6, v36, v6
	v_fma_f32 v36, 0xbf7ba420, v93, -v115
	v_add_f32_e32 v7, v126, v7
	v_fmac_f32_e32 v129, 0x3f7ee86f, v82
	v_add_f32_e32 v4, v37, v4
	v_fma_f32 v37, 0x3f6eb680, v89, -v149
	v_add_f32_e32 v6, v36, v6
	v_fma_f32 v36, 0x3f3d2fb0, v92, -v117
	v_add_f32_e32 v7, v129, v7
	v_fmac_f32_e32 v139, 0xbf2c7751, v83
	v_add_f32_e32 v4, v37, v4
	v_fma_f32 v37, 0xbf59a7d5, v90, -v150
	v_add_f32_e32 v6, v36, v6
	v_fma_f32 v36, 0xbe8c1d8e, v94, -v124
	v_add_f32_e32 v7, v139, v7
	v_fmac_f32_e32 v133, 0xbe3c28d5, v85
	v_add_f32_e32 v37, v37, v4
	v_fma_f32 v38, 0x3dbcf732, v91, -v162
	v_add_f32_e32 v4, v36, v6
	v_fmac_f32_e32 v146, 0xbf763a35, v84
	v_add_f32_e32 v6, v133, v7
	v_fmac_f32_e32 v137, 0x3f65296c, v88
	v_add_f32_e32 v36, v38, v37
	v_fma_f32 v37, 0x3f3d2fb0, v93, -v155
	v_add_f32_e32 v38, v33, v146
	v_fmac_f32_e32 v134, 0x3f06c442, v80
	v_add_f32_e32 v7, v137, v6
	v_fma_f32 v6, 0xbe8c1d8e, v86, -v164
	v_add_f32_e32 v36, v37, v36
	v_fma_f32 v37, 0xbf7ba420, v92, -v143
	v_add_f32_e32 v38, v134, v38
	v_fmac_f32_e32 v138, 0x3f2c7751, v81
	v_add_f32_e32 v6, v32, v6
	v_fma_f32 v39, 0xbf59a7d5, v87, -v166
	;; [unrolled: 6-line block ×3, first 2 shown]
	v_fmac_f32_e32 v182, 0xbf7ee86f, v84
	v_add_f32_e32 v6, v37, v36
	v_add_f32_e32 v36, v127, v38
	v_fmac_f32_e32 v128, 0xbe3c28d5, v82
	v_add_f32_e32 v37, v43, v39
	v_add_f32_e32 v39, v33, v182
	v_fmac_f32_e32 v183, 0xbe3c28d5, v80
	v_fma_f32 v38, 0x3ee437d1, v90, -v153
	v_add_f32_e32 v36, v128, v36
	v_fmac_f32_e32 v135, 0x3f7ee86f, v83
	v_fmac_f32_e32 v184, 0x3f763a35, v81
	v_add_f32_e32 v39, v183, v39
	v_add_f32_e32 v37, v38, v37
	v_fma_f32 v38, 0xbf7ba420, v91, -v172
	v_add_f32_e32 v36, v135, v36
	v_fmac_f32_e32 v136, 0xbeb8f4ab, v85
	v_add_f32_e32 v39, v184, v39
	v_fmac_f32_e32 v159, 0x3eb8f4ab, v79
	v_fma_f32 v43, 0x3dbcf732, v86, -v189
	v_add_f32_e32 v37, v38, v37
	v_fma_f32 v38, 0x3dbcf732, v93, -v173
	v_add_f32_e32 v36, v136, v36
	v_fmac_f32_e32 v130, 0xbf4c4adb, v88
	v_add_f32_e32 v39, v159, v39
	v_fmac_f32_e32 v160, 0xbf65296c, v82
	v_add_f32_e32 v43, v32, v43
	v_fma_f32 v51, 0xbf7ba420, v87, -v190
	v_add_f32_e32 v38, v38, v37
	v_fma_f32 v44, 0x3f6eb680, v92, -v152
	v_add_f32_e32 v37, v130, v36
	v_add_f32_e32 v36, v160, v39
	v_fmac_f32_e32 v179, 0xbf06c442, v83
	v_add_f32_e32 v39, v51, v43
	v_fma_f32 v43, 0xbe8c1d8e, v89, -v191
	v_add_f32_e32 v38, v44, v38
	v_fma_f32 v44, 0xbf1a4643, v94, -v156
	v_add_f32_e32 v51, v179, v36
	v_fmac_f32_e32 v161, 0x3f4c4adb, v85
	v_add_f32_e32 v39, v43, v39
	v_fma_f32 v43, 0x3f6eb680, v90, -v187
	v_add_f32_e32 v36, v44, v38
	v_fma_f32 v53, 0xbf1a4643, v87, -v208
	;; [unrolled: 2-line block ×4, first 2 shown]
	v_fmac_f32_e32 v142, 0x3f2c7751, v88
	v_fma_f32 v54, 0xbf1a4643, v92, -v174
	v_add_f32_e32 v51, v32, v51
	v_fmac_f32_e32 v209, 0xbf2c7751, v84
	v_add_f32_e32 v39, v43, v39
	v_fma_f32 v43, 0xbf59a7d5, v93, -v168
	v_fmac_f32_e32 v193, 0xbf65296c, v84
	v_add_f32_e32 v51, v53, v51
	v_fma_f32 v53, 0xbf7ba420, v89, -v212
	v_fmac_f32_e32 v210, 0xbf7ee86f, v80
	v_add_f32_e32 v43, v43, v39
	v_add_f32_e32 v39, v142, v38
	v_fma_f32 v55, 0xbf59a7d5, v94, -v202
	v_fmac_f32_e32 v203, 0xbeb8f4ab, v84
	v_add_f32_e32 v44, v33, v193
	v_add_f32_e32 v38, v54, v43
	;; [unrolled: 1-line block ×3, first 2 shown]
	v_fma_f32 v51, 0xbe8c1d8e, v90, -v213
	v_fma_f32 v53, 0x3f3d2fb0, v94, -v178
	v_add_f32_e32 v54, v33, v209
	v_add_f32_e32 v33, v33, v203
	v_fmac_f32_e32 v204, 0xbf2c7751, v80
	v_add_f32_e32 v43, v51, v43
	v_fma_f32 v51, 0x3f3d2fb0, v91, -v215
	v_add_f32_e32 v38, v53, v38
	v_add_f32_e32 v53, v210, v54
	v_fma_f32 v54, 0x3f3d2fb0, v86, -v218
	v_fmac_f32_e32 v169, 0xbf4c4adb, v80
	v_add_f32_e32 v43, v51, v43
	v_fma_f32 v51, 0x3f6eb680, v93, -v216
	v_fma_f32 v45, 0x3f3d2fb0, v87, -v45
	v_add_f32_e32 v33, v204, v33
	v_fmac_f32_e32 v206, 0xbf65296c, v81
	v_add_f32_e32 v44, v169, v44
	v_add_f32_e32 v43, v51, v43
	v_fma_f32 v51, 0x3dbcf732, v92, -v217
	v_fmac_f32_e32 v175, 0x3e3c28d5, v81
	v_fmac_f32_e32 v194, 0xbf4c4adb, v81
	v_add_f32_e32 v33, v206, v33
	v_fmac_f32_e32 v211, 0xbf7ee86f, v79
	v_add_f32_e32 v43, v51, v43
	v_add_f32_e32 v51, v32, v54
	v_fma_f32 v54, 0x3dbcf732, v87, -v219
	v_add_f32_e32 v44, v175, v44
	v_fmac_f32_e32 v176, 0x3f763a35, v79
	v_add_f32_e32 v43, v55, v43
	v_fma_f32 v55, 0x3f6eb680, v86, -v154
	v_add_f32_e32 v51, v54, v51
	v_fma_f32 v54, 0xbf1a4643, v89, -v220
	v_add_f32_e32 v53, v194, v53
	v_fmac_f32_e32 v195, 0xbe3c28d5, v79
	v_add_f32_e32 v32, v32, v55
	v_add_f32_e32 v33, v211, v33
	;; [unrolled: 1-line block ×3, first 2 shown]
	v_fma_f32 v54, 0xbf7ba420, v90, -v214
	v_fmac_f32_e32 v198, 0xbf763a35, v82
	v_add_f32_e32 v32, v45, v32
	v_fma_f32 v45, 0x3ee437d1, v89, -v46
	v_mul_f32_e32 v199, 0x3f65296c, v196
	v_add_f32_e32 v44, v176, v44
	v_fmac_f32_e32 v180, 0x3f2c7751, v82
	v_add_f32_e32 v53, v195, v53
	v_add_f32_e32 v32, v45, v32
	v_fma_f32 v45, 0x3dbcf732, v90, -v52
	v_fmac_f32_e32 v197, 0x3f06c442, v82
	v_add_f32_e32 v51, v54, v51
	v_fma_f32 v54, 0xbf59a7d5, v91, -v201
	v_add_f32_e32 v33, v198, v33
	v_add_f32_e32 v32, v45, v32
	v_fma_f32 v45, 0xbe8c1d8e, v91, -v49
	v_fmac_f32_e32 v41, 0xbf4c4adb, v83
	v_fmamk_f32 v222, v92, 0x3ee437d1, v199
	v_add_f32_e32 v44, v180, v44
	v_fmac_f32_e32 v185, 0xbeb8f4ab, v83
	v_add_f32_e32 v53, v197, v53
	v_fmac_f32_e32 v170, 0x3f763a35, v83
	v_add_f32_e32 v46, v54, v51
	v_fma_f32 v51, 0xbe8c1d8e, v93, -v200
	v_add_f32_e32 v32, v45, v32
	v_fma_f32 v45, 0xbf1a4643, v93, -v48
	v_add_f32_e32 v33, v41, v33
	v_mul_lo_u16 v41, v75, 17
	v_add_f32_e32 v222, v222, v221
	v_mul_f32_e32 v221, 0x3eb8f4ab, v207
	v_add_f32_e32 v44, v185, v44
	v_fmac_f32_e32 v181, 0xbf7ee86f, v85
	v_add_f32_e32 v53, v170, v53
	v_fmac_f32_e32 v157, 0x3f65296c, v85
	v_add_f32_e32 v46, v51, v46
	v_fma_f32 v49, 0x3ee437d1, v92, -v199
	v_fmac_f32_e32 v40, 0xbf06c442, v85
	v_add_f32_e32 v32, v45, v32
	v_fma_f32 v45, 0xbf59a7d5, v92, -v50
	v_and_b32_e32 v41, 0xffff, v41
	v_fmamk_f32 v71, v94, 0x3f6eb680, v221
	v_add_f32_e32 v1, v58, v1
	v_add_f32_e32 v0, v57, v0
	;; [unrolled: 1-line block ×3, first 2 shown]
	v_fmac_f32_e32 v151, 0xbf06c442, v88
	v_add_f32_e32 v52, v157, v53
	v_fmac_f32_e32 v144, 0x3eb8f4ab, v88
	v_add_f32_e32 v46, v49, v46
	v_fma_f32 v48, 0x3f6eb680, v94, -v221
	v_add_f32_e32 v40, v40, v33
	v_fmac_f32_e32 v42, 0xbe3c28d5, v88
	v_add_f32_e32 v45, v45, v32
	v_fma_f32 v47, 0xbf7ba420, v94, -v47
	v_lshl_add_u32 v49, v41, 3, v76
	v_add_f32_e32 v71, v71, v222
	v_add_f32_e32 v44, v151, v44
	;; [unrolled: 1-line block ×6, first 2 shown]
	ds_write2_b64 v49, v[0:1], v[34:35] offset1:1
	ds_write2_b64 v49, v[71:72], v[69:70] offset0:2 offset1:3
	ds_write2_b64 v49, v[67:68], v[65:66] offset0:4 offset1:5
	;; [unrolled: 1-line block ×7, first 2 shown]
	ds_write_b64 v49, v[40:41] offset:128
.LBB0_13:
	s_or_b32 exec_lo, exec_lo, s4
	s_waitcnt lgkmcnt(0)
	s_barrier
	buffer_gl0_inv
	ds_read2_b64 v[32:35], v78 offset1:17
	ds_read2_b64 v[0:3], v78 offset0:34 offset1:51
	ds_read2_b64 v[36:39], v78 offset0:68 offset1:85
	;; [unrolled: 1-line block ×5, first 2 shown]
	ds_read_b64 v[52:53], v78 offset:1632
	s_waitcnt lgkmcnt(6)
	v_mul_f32_e32 v54, v29, v35
	v_mul_f32_e32 v4, v29, v34
	s_waitcnt lgkmcnt(5)
	v_mul_f32_e32 v29, v31, v1
	v_mul_f32_e32 v5, v31, v0
	;; [unrolled: 1-line block ×3, first 2 shown]
	v_fmac_f32_e32 v54, v28, v34
	v_fma_f32 v28, v28, v35, -v4
	v_fmac_f32_e32 v29, v30, v0
	v_fma_f32 v30, v30, v1, -v5
	s_waitcnt lgkmcnt(3)
	v_mul_f32_e32 v0, v19, v40
	v_add_f32_e32 v1, v32, v54
	v_mul_f32_e32 v7, v25, v2
	v_mul_f32_e32 v25, v27, v37
	v_fmac_f32_e32 v31, v24, v2
	v_add_f32_e32 v5, v33, v28
	v_fma_f32 v4, v18, v41, -v0
	v_add_f32_e32 v0, v1, v29
	v_mul_f32_e32 v27, v27, v36
	v_mul_f32_e32 v6, v17, v39
	v_fma_f32 v24, v24, v3, -v7
	v_fmac_f32_e32 v25, v26, v36
	v_add_f32_e32 v1, v5, v30
	v_add_f32_e32 v0, v0, v31
	v_mul_f32_e32 v17, v17, v38
	v_fma_f32 v26, v26, v37, -v27
	v_fmac_f32_e32 v6, v16, v38
	v_mul_f32_e32 v2, v19, v41
	v_add_f32_e32 v1, v1, v24
	v_add_f32_e32 v0, v0, v25
	v_fma_f32 v7, v16, v39, -v17
	v_mul_f32_e32 v3, v9, v43
	v_fmac_f32_e32 v2, v18, v40
	v_add_f32_e32 v1, v1, v26
	v_add_f32_e32 v0, v0, v6
	v_mul_f32_e32 v5, v9, v42
	v_fmac_f32_e32 v3, v8, v42
	s_waitcnt lgkmcnt(2)
	v_mul_f32_e32 v9, v11, v45
	v_add_f32_e32 v1, v1, v7
	v_add_f32_e32 v0, v0, v2
	v_fma_f32 v5, v8, v43, -v5
	v_mul_f32_e32 v8, v11, v44
	v_fmac_f32_e32 v9, v10, v44
	v_mul_f32_e32 v11, v21, v47
	v_add_f32_e32 v1, v1, v4
	v_add_f32_e32 v0, v0, v3
	s_waitcnt lgkmcnt(0)
	v_mul_f32_e32 v19, v15, v52
	v_fma_f32 v8, v10, v45, -v8
	v_mul_f32_e32 v10, v21, v46
	v_fmac_f32_e32 v11, v20, v46
	v_mul_f32_e32 v16, v23, v49
	v_add_f32_e32 v1, v1, v5
	v_add_f32_e32 v0, v0, v9
	v_mul_f32_e32 v15, v15, v53
	v_fma_f32 v19, v14, v53, -v19
	v_fma_f32 v10, v20, v47, -v10
	v_mul_f32_e32 v17, v23, v48
	v_fmac_f32_e32 v16, v22, v48
	v_mul_f32_e32 v18, v13, v51
	v_add_f32_e32 v1, v1, v8
	v_mul_f32_e32 v13, v13, v50
	v_add_f32_e32 v0, v0, v11
	v_fmac_f32_e32 v15, v14, v52
	v_sub_f32_e32 v14, v28, v19
	v_fma_f32 v17, v22, v49, -v17
	v_fmac_f32_e32 v18, v12, v50
	v_add_f32_e32 v1, v1, v10
	v_fma_f32 v12, v12, v51, -v13
	v_add_f32_e32 v0, v0, v16
	v_add_f32_e32 v13, v54, v15
	v_mul_f32_e32 v20, 0xbeedf032, v14
	v_add_f32_e32 v1, v1, v17
	v_add_f32_e32 v21, v28, v19
	;; [unrolled: 1-line block ×3, first 2 shown]
	v_sub_f32_e32 v49, v30, v12
	v_fmamk_f32 v23, v13, 0x3f62ad3f, v20
	v_add_f32_e32 v1, v1, v12
	v_sub_f32_e32 v22, v54, v15
	v_mul_f32_e32 v27, 0x3f62ad3f, v21
	v_add_f32_e32 v0, v0, v15
	v_add_f32_e32 v15, v32, v23
	v_mul_f32_e32 v23, 0xbf52af12, v14
	v_mul_f32_e32 v28, 0x3f116cb1, v21
	;; [unrolled: 1-line block ×10, first 2 shown]
	v_add_f32_e32 v51, v29, v18
	v_mul_f32_e32 v52, 0xbf52af12, v49
	v_add_f32_e32 v12, v30, v12
	v_add_f32_e32 v1, v1, v19
	v_fmamk_f32 v19, v22, 0x3eedf032, v27
	v_fma_f32 v20, 0x3f62ad3f, v13, -v20
	v_fmac_f32_e32 v27, 0xbeedf032, v22
	v_fmamk_f32 v34, v13, 0x3f116cb1, v23
	v_fmamk_f32 v35, v22, 0x3f52af12, v28
	v_fma_f32 v23, 0x3f116cb1, v13, -v23
	v_fmac_f32_e32 v28, 0xbf52af12, v22
	v_fmamk_f32 v37, v13, 0x3df6dbef, v36
	v_fmamk_f32 v40, v22, 0x3f7e222b, v38
	v_fma_f32 v36, 0x3df6dbef, v13, -v36
	v_fmac_f32_e32 v38, 0xbf7e222b, v22
	v_fmamk_f32 v41, v13, 0xbeb58ec6, v39
	v_fmamk_f32 v43, v22, 0x3f6f5d39, v42
	v_fma_f32 v39, 0xbeb58ec6, v13, -v39
	v_fmac_f32_e32 v42, 0xbf6f5d39, v22
	v_fmamk_f32 v46, v13, 0xbf3f9e67, v44
	v_fmamk_f32 v47, v22, 0x3f29c268, v45
	v_fma_f32 v44, 0xbf3f9e67, v13, -v44
	v_fmac_f32_e32 v45, 0xbf29c268, v22
	v_fmamk_f32 v48, v13, 0xbf788fa5, v14
	v_fmamk_f32 v50, v22, 0x3e750f2a, v21
	v_fma_f32 v13, 0xbf788fa5, v13, -v14
	v_fmac_f32_e32 v21, 0xbe750f2a, v22
	v_sub_f32_e32 v14, v29, v18
	v_fmamk_f32 v18, v51, 0x3f116cb1, v52
	v_mul_f32_e32 v22, 0x3f116cb1, v12
	v_add_f32_e32 v19, v33, v19
	v_add_f32_e32 v20, v32, v20
	;; [unrolled: 1-line block ×24, first 2 shown]
	v_fmamk_f32 v18, v14, 0x3f52af12, v22
	v_mul_f32_e32 v30, 0xbf6f5d39, v49
	v_fma_f32 v32, 0x3f116cb1, v51, -v52
	v_fmac_f32_e32 v22, 0xbf52af12, v14
	v_mul_f32_e32 v33, 0xbeb58ec6, v12
	v_add_f32_e32 v18, v18, v19
	v_fmamk_f32 v19, v51, 0xbeb58ec6, v30
	v_add_f32_e32 v20, v32, v20
	v_add_f32_e32 v22, v22, v27
	v_fmamk_f32 v27, v14, 0x3f6f5d39, v33
	v_mul_f32_e32 v32, 0xbe750f2a, v49
	v_fma_f32 v30, 0xbeb58ec6, v51, -v30
	v_add_f32_e32 v19, v19, v34
	v_fmac_f32_e32 v33, 0xbf6f5d39, v14
	v_add_f32_e32 v27, v27, v35
	v_fmamk_f32 v34, v51, 0xbf788fa5, v32
	v_mul_f32_e32 v35, 0xbf788fa5, v12
	v_add_f32_e32 v23, v30, v23
	v_mul_f32_e32 v30, 0x3f29c268, v49
	v_add_f32_e32 v28, v33, v28
	v_add_f32_e32 v33, v34, v37
	v_fmamk_f32 v34, v14, 0x3e750f2a, v35
	v_fma_f32 v32, 0xbf788fa5, v51, -v32
	v_fmac_f32_e32 v35, 0xbe750f2a, v14
	v_fmamk_f32 v37, v51, 0xbf3f9e67, v30
	v_mul_f32_e32 v50, 0xbf3f9e67, v12
	v_add_f32_e32 v34, v34, v40
	v_add_f32_e32 v32, v32, v36
	;; [unrolled: 1-line block ×4, first 2 shown]
	v_fmamk_f32 v37, v14, 0xbf29c268, v50
	v_mul_f32_e32 v38, 0x3f7e222b, v49
	v_fma_f32 v30, 0xbf3f9e67, v51, -v30
	v_mul_f32_e32 v40, 0x3df6dbef, v12
	v_mul_f32_e32 v12, 0x3f62ad3f, v12
	v_add_f32_e32 v37, v37, v43
	v_fmamk_f32 v41, v51, 0x3df6dbef, v38
	v_mul_f32_e32 v43, 0x3eedf032, v49
	v_fma_f32 v38, 0x3df6dbef, v51, -v38
	v_add_f32_e32 v30, v30, v39
	v_fmamk_f32 v39, v14, 0xbf7e222b, v40
	v_add_f32_e32 v41, v41, v46
	v_fmac_f32_e32 v40, 0x3f7e222b, v14
	v_fmamk_f32 v46, v51, 0x3f62ad3f, v43
	v_add_f32_e32 v38, v38, v44
	v_sub_f32_e32 v44, v24, v17
	v_add_f32_e32 v39, v39, v47
	v_add_f32_e32 v40, v40, v45
	;; [unrolled: 1-line block ×4, first 2 shown]
	v_mul_f32_e32 v48, 0xbf7e222b, v44
	v_add_f32_e32 v17, v24, v17
	v_fmac_f32_e32 v50, 0x3f29c268, v14
	v_fmamk_f32 v46, v14, 0xbeedf032, v12
	v_fma_f32 v24, 0x3f62ad3f, v51, -v43
	v_fmac_f32_e32 v12, 0x3eedf032, v14
	v_sub_f32_e32 v14, v31, v16
	v_fmamk_f32 v16, v47, 0x3df6dbef, v48
	v_mul_f32_e32 v31, 0x3df6dbef, v17
	v_add_f32_e32 v13, v24, v13
	v_add_f32_e32 v12, v12, v21
	v_mul_f32_e32 v21, 0xbe750f2a, v44
	v_add_f32_e32 v15, v16, v15
	v_fmamk_f32 v16, v14, 0x3f7e222b, v31
	v_fma_f32 v24, 0x3df6dbef, v47, -v48
	v_fmac_f32_e32 v31, 0xbf7e222b, v14
	v_mul_f32_e32 v43, 0xbf788fa5, v17
	v_add_f32_e32 v29, v46, v29
	v_add_f32_e32 v16, v16, v18
	v_fmamk_f32 v18, v47, 0xbf788fa5, v21
	v_add_f32_e32 v20, v24, v20
	v_add_f32_e32 v22, v31, v22
	v_fmamk_f32 v24, v14, 0x3e750f2a, v43
	v_mul_f32_e32 v31, 0x3f6f5d39, v44
	v_add_f32_e32 v18, v18, v19
	v_fma_f32 v19, 0xbf788fa5, v47, -v21
	v_fmac_f32_e32 v43, 0xbe750f2a, v14
	v_add_f32_e32 v21, v24, v27
	v_fmamk_f32 v24, v47, 0xbeb58ec6, v31
	v_mul_f32_e32 v27, 0xbeb58ec6, v17
	v_mul_f32_e32 v46, 0x3f62ad3f, v17
	v_add_f32_e32 v19, v19, v23
	v_add_f32_e32 v23, v43, v28
	;; [unrolled: 1-line block ×3, first 2 shown]
	v_fmamk_f32 v33, v14, 0xbf6f5d39, v27
	v_fmac_f32_e32 v27, 0x3f6f5d39, v14
	v_mul_f32_e32 v28, 0x3eedf032, v44
	v_fma_f32 v31, 0xbeb58ec6, v47, -v31
	v_add_f32_e32 v42, v50, v42
	v_add_f32_e32 v33, v33, v34
	;; [unrolled: 1-line block ×3, first 2 shown]
	v_fmamk_f32 v34, v14, 0xbeedf032, v46
	v_mul_f32_e32 v35, 0xbf52af12, v44
	v_fmamk_f32 v43, v47, 0x3f62ad3f, v28
	v_add_f32_e32 v31, v31, v32
	v_fma_f32 v28, 0x3f62ad3f, v47, -v28
	v_add_f32_e32 v34, v34, v37
	v_fmamk_f32 v37, v47, 0x3f116cb1, v35
	v_fma_f32 v35, 0x3f116cb1, v47, -v35
	v_add_f32_e32 v32, v43, v36
	v_mul_f32_e32 v36, 0x3f116cb1, v17
	v_add_f32_e32 v28, v28, v30
	v_mul_f32_e32 v43, 0xbf29c268, v44
	v_add_f32_e32 v35, v35, v38
	v_sub_f32_e32 v38, v26, v10
	v_fmamk_f32 v30, v14, 0x3f52af12, v36
	v_add_f32_e32 v37, v37, v41
	v_fmac_f32_e32 v36, 0xbf52af12, v14
	v_mul_f32_e32 v17, 0xbf3f9e67, v17
	v_add_f32_e32 v41, v25, v11
	v_mul_f32_e32 v44, 0xbf6f5d39, v38
	v_add_f32_e32 v10, v26, v10
	v_fmac_f32_e32 v46, 0x3eedf032, v14
	v_add_f32_e32 v36, v36, v40
	v_fmamk_f32 v40, v14, 0x3f29c268, v17
	v_fma_f32 v26, 0xbf3f9e67, v47, -v43
	v_fmac_f32_e32 v17, 0xbf29c268, v14
	v_sub_f32_e32 v11, v25, v11
	v_fmamk_f32 v14, v41, 0xbeb58ec6, v44
	v_mul_f32_e32 v25, 0xbeb58ec6, v10
	v_add_f32_e32 v29, v40, v29
	v_add_f32_e32 v13, v26, v13
	;; [unrolled: 1-line block ×4, first 2 shown]
	v_fmamk_f32 v15, v11, 0x3f6f5d39, v25
	v_mul_f32_e32 v17, 0x3f29c268, v38
	v_fma_f32 v26, 0xbeb58ec6, v41, -v44
	v_fmac_f32_e32 v25, 0xbf6f5d39, v11
	v_mul_f32_e32 v40, 0xbf3f9e67, v10
	v_add_f32_e32 v15, v15, v16
	v_fmamk_f32 v16, v41, 0xbf3f9e67, v17
	v_add_f32_e32 v20, v26, v20
	v_add_f32_e32 v22, v25, v22
	v_fmamk_f32 v25, v11, 0xbf29c268, v40
	v_mul_f32_e32 v26, 0x3eedf032, v38
	v_fma_f32 v17, 0xbf3f9e67, v41, -v17
	v_fmac_f32_e32 v40, 0x3f29c268, v11
	v_add_f32_e32 v16, v16, v18
	v_add_f32_e32 v18, v25, v21
	v_fmamk_f32 v21, v41, 0x3f62ad3f, v26
	v_mul_f32_e32 v25, 0x3f62ad3f, v10
	v_add_f32_e32 v17, v17, v19
	v_add_f32_e32 v19, v40, v23
	v_mul_f32_e32 v23, 0xbf7e222b, v38
	v_add_f32_e32 v30, v30, v39
	v_fmamk_f32 v39, v47, 0xbf3f9e67, v43
	v_add_f32_e32 v21, v21, v24
	v_fmamk_f32 v24, v11, 0xbeedf032, v25
	v_fma_f32 v26, 0x3f62ad3f, v41, -v26
	v_fmac_f32_e32 v25, 0x3eedf032, v11
	v_fmamk_f32 v40, v41, 0x3df6dbef, v23
	v_mul_f32_e32 v43, 0x3df6dbef, v10
	v_add_f32_e32 v24, v24, v33
	v_add_f32_e32 v26, v26, v31
	;; [unrolled: 1-line block ×4, first 2 shown]
	v_fmamk_f32 v31, v11, 0x3f7e222b, v43
	v_mul_f32_e32 v32, 0x3e750f2a, v38
	v_fma_f32 v23, 0x3df6dbef, v41, -v23
	v_mul_f32_e32 v33, 0xbf788fa5, v10
	v_mul_f32_e32 v38, 0x3f52af12, v38
	v_add_f32_e32 v31, v31, v34
	v_fmamk_f32 v34, v41, 0xbf788fa5, v32
	v_add_f32_e32 v23, v23, v28
	v_fmamk_f32 v28, v11, 0xbe750f2a, v33
	v_fma_f32 v32, 0xbf788fa5, v41, -v32
	v_add_f32_e32 v39, v39, v45
	v_add_f32_e32 v34, v34, v37
	v_fmac_f32_e32 v33, 0x3e750f2a, v11
	v_add_f32_e32 v28, v28, v30
	v_fmamk_f32 v30, v41, 0x3f116cb1, v38
	v_add_f32_e32 v32, v32, v35
	v_sub_f32_e32 v35, v7, v8
	v_mul_f32_e32 v10, 0x3f116cb1, v10
	v_add_f32_e32 v37, v6, v9
	v_add_f32_e32 v30, v30, v39
	;; [unrolled: 1-line block ×3, first 2 shown]
	v_mul_f32_e32 v39, 0xbf29c268, v35
	v_fmac_f32_e32 v43, 0xbf7e222b, v11
	v_add_f32_e32 v33, v33, v36
	v_fmamk_f32 v36, v11, 0xbf52af12, v10
	v_fma_f32 v8, 0x3f116cb1, v41, -v38
	v_fmac_f32_e32 v10, 0x3f52af12, v11
	v_sub_f32_e32 v6, v6, v9
	v_fmamk_f32 v9, v37, 0xbf3f9e67, v39
	v_mul_f32_e32 v11, 0xbf3f9e67, v7
	v_add_f32_e32 v29, v36, v29
	v_add_f32_e32 v8, v8, v13
	;; [unrolled: 1-line block ×4, first 2 shown]
	v_fmamk_f32 v12, v6, 0x3f29c268, v11
	v_mul_f32_e32 v13, 0x3f7e222b, v35
	v_fma_f32 v14, 0xbf3f9e67, v37, -v39
	v_fmac_f32_e32 v11, 0xbf29c268, v6
	v_mul_f32_e32 v36, 0x3df6dbef, v7
	v_add_f32_e32 v12, v12, v15
	v_fmamk_f32 v15, v37, 0x3df6dbef, v13
	v_add_f32_e32 v14, v14, v20
	v_add_f32_e32 v11, v11, v22
	v_fmamk_f32 v20, v6, 0xbf7e222b, v36
	v_mul_f32_e32 v22, 0xbf52af12, v35
	v_fma_f32 v13, 0x3df6dbef, v37, -v13
	v_fmac_f32_e32 v36, 0x3f7e222b, v6
	v_add_f32_e32 v15, v15, v16
	v_add_f32_e32 v16, v20, v18
	v_fmamk_f32 v18, v37, 0x3f116cb1, v22
	v_mul_f32_e32 v20, 0x3f116cb1, v7
	v_add_f32_e32 v13, v13, v17
	v_add_f32_e32 v17, v36, v19
	v_mul_f32_e32 v19, 0x3e750f2a, v35
	v_add_f32_e32 v18, v18, v21
	v_fmamk_f32 v21, v6, 0x3f52af12, v20
	v_fma_f32 v22, 0x3f116cb1, v37, -v22
	v_fmac_f32_e32 v20, 0xbf52af12, v6
	v_fmamk_f32 v36, v37, 0xbf788fa5, v19
	v_mul_f32_e32 v38, 0xbf788fa5, v7
	v_add_f32_e32 v42, v46, v42
	v_add_f32_e32 v21, v21, v24
	;; [unrolled: 1-line block ×5, first 2 shown]
	v_fmamk_f32 v25, v6, 0xbe750f2a, v38
	v_mul_f32_e32 v26, 0x3eedf032, v35
	v_fma_f32 v19, 0xbf788fa5, v37, -v19
	v_mul_f32_e32 v27, 0x3f62ad3f, v7
	v_add_f32_e32 v40, v43, v42
	v_fmac_f32_e32 v38, 0x3e750f2a, v6
	v_add_f32_e32 v25, v25, v31
	v_fmamk_f32 v31, v37, 0x3f62ad3f, v26
	v_add_f32_e32 v19, v19, v23
	v_fmamk_f32 v23, v6, 0xbeedf032, v27
	v_mul_f32_e32 v35, 0xbf6f5d39, v35
	v_fma_f32 v26, 0x3f62ad3f, v37, -v26
	v_add_f32_e32 v36, v38, v40
	v_fmac_f32_e32 v27, 0x3eedf032, v6
	v_add_f32_e32 v23, v23, v28
	v_fmamk_f32 v28, v37, 0xbeb58ec6, v35
	v_mul_f32_e32 v7, 0xbeb58ec6, v7
	v_add_f32_e32 v26, v26, v32
	v_sub_f32_e32 v32, v4, v5
	v_add_f32_e32 v38, v4, v5
	v_add_f32_e32 v31, v31, v34
	;; [unrolled: 1-line block ×4, first 2 shown]
	v_fmamk_f32 v30, v6, 0x3f6f5d39, v7
	v_add_f32_e32 v33, v2, v3
	v_mul_f32_e32 v34, 0xbe750f2a, v32
	v_fma_f32 v4, 0xbeb58ec6, v37, -v35
	v_fmac_f32_e32 v7, 0xbf6f5d39, v6
	v_sub_f32_e32 v35, v2, v3
	v_mul_f32_e32 v5, 0xbf788fa5, v38
	v_fmamk_f32 v2, v33, 0xbf788fa5, v34
	v_add_f32_e32 v29, v30, v29
	v_add_f32_e32 v37, v7, v10
	v_mul_f32_e32 v7, 0x3eedf032, v32
	v_fmamk_f32 v3, v35, 0x3e750f2a, v5
	v_fmac_f32_e32 v5, 0xbe750f2a, v35
	v_add_f32_e32 v30, v4, v8
	v_add_f32_e32 v2, v2, v9
	v_fma_f32 v4, 0xbf788fa5, v33, -v34
	v_mul_f32_e32 v9, 0x3f62ad3f, v38
	v_fmamk_f32 v6, v33, 0x3f62ad3f, v7
	v_add_f32_e32 v5, v5, v11
	v_mul_f32_e32 v11, 0xbf29c268, v32
	v_add_f32_e32 v3, v3, v12
	v_add_f32_e32 v4, v4, v14
	v_fmamk_f32 v8, v35, 0xbeedf032, v9
	v_add_f32_e32 v6, v6, v15
	v_fma_f32 v10, 0x3f62ad3f, v33, -v7
	v_fmac_f32_e32 v9, 0x3eedf032, v35
	v_fmamk_f32 v12, v33, 0xbf3f9e67, v11
	v_mul_f32_e32 v14, 0xbf3f9e67, v38
	v_mul_f32_e32 v15, 0x3f52af12, v32
	v_add_f32_e32 v7, v8, v16
	v_add_f32_e32 v8, v10, v13
	;; [unrolled: 1-line block ×4, first 2 shown]
	v_fmamk_f32 v12, v35, 0x3f29c268, v14
	v_fma_f32 v13, 0xbf3f9e67, v33, -v11
	v_fmac_f32_e32 v14, 0xbf29c268, v35
	v_fmamk_f32 v16, v33, 0x3f116cb1, v15
	v_mul_f32_e32 v17, 0x3f116cb1, v38
	v_add_f32_e32 v11, v12, v21
	v_add_f32_e32 v12, v13, v22
	;; [unrolled: 1-line block ×4, first 2 shown]
	v_fmamk_f32 v16, v35, 0xbf52af12, v17
	v_fma_f32 v18, 0x3f116cb1, v33, -v15
	v_mul_f32_e32 v20, 0xbf6f5d39, v32
	v_mul_f32_e32 v21, 0xbeb58ec6, v38
	;; [unrolled: 1-line block ×3, first 2 shown]
	v_add_f32_e32 v15, v16, v25
	v_add_f32_e32 v16, v18, v19
	v_fmamk_f32 v18, v33, 0xbeb58ec6, v20
	v_fmamk_f32 v19, v35, 0x3f6f5d39, v21
	v_fma_f32 v20, 0xbeb58ec6, v33, -v20
	v_mul_f32_e32 v25, 0x3df6dbef, v38
	v_fmac_f32_e32 v17, 0x3f52af12, v35
	v_fmac_f32_e32 v21, 0xbf6f5d39, v35
	v_add_f32_e32 v19, v19, v23
	v_add_f32_e32 v20, v20, v26
	v_fmamk_f32 v23, v33, 0x3df6dbef, v22
	v_fmamk_f32 v24, v35, 0xbf7e222b, v25
	v_fma_f32 v26, 0x3df6dbef, v33, -v22
	v_fmac_f32_e32 v25, 0x3f7e222b, v35
	v_add_f32_e32 v18, v18, v31
	v_add_f32_e32 v22, v23, v28
	;; [unrolled: 1-line block ×7, first 2 shown]
	ds_write2_b64 v77, v[0:1], v[2:3] offset1:17
	ds_write2_b64 v77, v[6:7], v[10:11] offset0:34 offset1:51
	ds_write2_b64 v77, v[14:15], v[18:19] offset0:68 offset1:85
	;; [unrolled: 1-line block ×5, first 2 shown]
	ds_write_b64 v77, v[4:5] offset:1632
	s_waitcnt lgkmcnt(0)
	s_barrier
	buffer_gl0_inv
	s_and_b32 exec_lo, exec_lo, vcc_lo
	s_cbranch_execz .LBB0_15
; %bb.14:
	global_load_dwordx2 v[0:1], v74, s[6:7]
	ds_read_b64 v[2:3], v77
	s_mov_b32 s4, 0x1288b013
	s_mov_b32 s5, 0x3f7288b0
	v_mad_u64_u32 v[6:7], null, s0, v75, 0
	s_mul_hi_u32 s8, s0, 0x68
	s_waitcnt vmcnt(0) lgkmcnt(0)
	v_mul_f32_e32 v4, v3, v1
	v_mul_f32_e32 v1, v2, v1
	v_fmac_f32_e32 v4, v2, v0
	v_fma_f32 v2, v0, v3, -v1
	v_cvt_f64_f32_e32 v[0:1], v4
	v_cvt_f64_f32_e32 v[2:3], v2
	v_mad_u64_u32 v[4:5], null, s2, v56, 0
	s_mul_i32 s2, s1, 0x68
	s_add_i32 s2, s8, s2
	v_mad_u64_u32 v[8:9], null, s3, v56, v[5:6]
	s_mul_i32 s3, s0, 0x68
	v_mad_u64_u32 v[9:10], null, s1, v75, v[7:8]
	v_mov_b32_e32 v5, v8
	v_mul_f64 v[0:1], v[0:1], s[4:5]
	v_mul_f64 v[2:3], v[2:3], s[4:5]
	v_mov_b32_e32 v7, v9
	v_cvt_f32_f64_e32 v0, v[0:1]
	v_cvt_f32_f64_e32 v1, v[2:3]
	v_lshlrev_b64 v[2:3], 3, v[4:5]
	v_lshlrev_b64 v[4:5], 3, v[6:7]
	v_add_co_u32 v8, vcc_lo, s12, v2
	v_add_co_ci_u32_e32 v9, vcc_lo, s13, v3, vcc_lo
	v_add_co_u32 v4, vcc_lo, v8, v4
	v_add_co_ci_u32_e32 v5, vcc_lo, v9, v5, vcc_lo
	global_store_dwordx2 v[4:5], v[0:1], off
	global_load_dwordx2 v[6:7], v74, s[6:7] offset:104
	ds_read2_b64 v[0:3], v77 offset0:13 offset1:26
	v_add_co_u32 v4, vcc_lo, v4, s3
	v_add_co_ci_u32_e32 v5, vcc_lo, s2, v5, vcc_lo
	s_waitcnt vmcnt(0) lgkmcnt(0)
	v_mul_f32_e32 v10, v1, v7
	v_mul_f32_e32 v7, v0, v7
	v_fmac_f32_e32 v10, v0, v6
	v_fma_f32 v6, v6, v1, -v7
	v_cvt_f64_f32_e32 v[0:1], v10
	v_cvt_f64_f32_e32 v[6:7], v6
	v_mul_f64 v[0:1], v[0:1], s[4:5]
	v_mul_f64 v[6:7], v[6:7], s[4:5]
	v_cvt_f32_f64_e32 v0, v[0:1]
	v_cvt_f32_f64_e32 v1, v[6:7]
	global_store_dwordx2 v[4:5], v[0:1], off
	global_load_dwordx2 v[0:1], v74, s[6:7] offset:208
	v_add_co_u32 v4, vcc_lo, v4, s3
	v_add_co_ci_u32_e32 v5, vcc_lo, s2, v5, vcc_lo
	s_waitcnt vmcnt(0)
	v_mul_f32_e32 v6, v3, v1
	v_mul_f32_e32 v1, v2, v1
	v_fmac_f32_e32 v6, v2, v0
	v_fma_f32 v2, v0, v3, -v1
	v_cvt_f64_f32_e32 v[0:1], v6
	v_cvt_f64_f32_e32 v[2:3], v2
	v_mul_f64 v[0:1], v[0:1], s[4:5]
	v_mul_f64 v[2:3], v[2:3], s[4:5]
	v_cvt_f32_f64_e32 v0, v[0:1]
	v_cvt_f32_f64_e32 v1, v[2:3]
	global_store_dwordx2 v[4:5], v[0:1], off
	global_load_dwordx2 v[6:7], v74, s[6:7] offset:312
	ds_read2_b64 v[0:3], v77 offset0:39 offset1:52
	v_add_co_u32 v4, vcc_lo, v4, s3
	v_add_co_ci_u32_e32 v5, vcc_lo, s2, v5, vcc_lo
	s_waitcnt vmcnt(0) lgkmcnt(0)
	v_mul_f32_e32 v10, v1, v7
	v_mul_f32_e32 v7, v0, v7
	v_fmac_f32_e32 v10, v0, v6
	v_fma_f32 v6, v6, v1, -v7
	v_cvt_f64_f32_e32 v[0:1], v10
	v_cvt_f64_f32_e32 v[6:7], v6
	v_mul_f64 v[0:1], v[0:1], s[4:5]
	v_mul_f64 v[6:7], v[6:7], s[4:5]
	v_cvt_f32_f64_e32 v0, v[0:1]
	v_cvt_f32_f64_e32 v1, v[6:7]
	global_store_dwordx2 v[4:5], v[0:1], off
	global_load_dwordx2 v[0:1], v74, s[6:7] offset:416
	v_add_co_u32 v4, vcc_lo, v4, s3
	v_add_co_ci_u32_e32 v5, vcc_lo, s2, v5, vcc_lo
	s_waitcnt vmcnt(0)
	v_mul_f32_e32 v6, v3, v1
	v_mul_f32_e32 v1, v2, v1
	v_fmac_f32_e32 v6, v2, v0
	v_fma_f32 v2, v0, v3, -v1
	v_cvt_f64_f32_e32 v[0:1], v6
	v_cvt_f64_f32_e32 v[2:3], v2
	v_mul_f64 v[0:1], v[0:1], s[4:5]
	v_mul_f64 v[2:3], v[2:3], s[4:5]
	v_cvt_f32_f64_e32 v0, v[0:1]
	v_cvt_f32_f64_e32 v1, v[2:3]
	;; [unrolled: 31-line block ×7, first 2 shown]
	global_store_dwordx2 v[4:5], v[0:1], off
	global_load_dwordx2 v[6:7], v74, s[6:7] offset:1560
	ds_read2_b64 v[0:3], v77 offset0:195 offset1:208
	v_add_co_u32 v4, vcc_lo, v4, s3
	v_add_co_ci_u32_e32 v5, vcc_lo, s2, v5, vcc_lo
	s_waitcnt vmcnt(0) lgkmcnt(0)
	v_mul_f32_e32 v10, v1, v7
	v_mul_f32_e32 v7, v0, v7
	v_fmac_f32_e32 v10, v0, v6
	v_fma_f32 v6, v6, v1, -v7
	v_cvt_f64_f32_e32 v[0:1], v10
	v_cvt_f64_f32_e32 v[6:7], v6
	v_mul_f64 v[0:1], v[0:1], s[4:5]
	v_mul_f64 v[6:7], v[6:7], s[4:5]
	v_cvt_f32_f64_e32 v0, v[0:1]
	v_cvt_f32_f64_e32 v1, v[6:7]
	global_store_dwordx2 v[4:5], v[0:1], off
	global_load_dwordx2 v[0:1], v74, s[6:7] offset:1664
	s_waitcnt vmcnt(0)
	v_mul_f32_e32 v4, v3, v1
	v_mul_f32_e32 v1, v2, v1
	v_fmac_f32_e32 v4, v2, v0
	v_fma_f32 v2, v0, v3, -v1
	v_cvt_f64_f32_e32 v[0:1], v4
	v_cvt_f64_f32_e32 v[2:3], v2
	v_mad_u64_u32 v[4:5], null, s0, v73, 0
	v_mad_u64_u32 v[5:6], null, s1, v73, v[5:6]
	v_mul_f64 v[0:1], v[0:1], s[4:5]
	v_mul_f64 v[2:3], v[2:3], s[4:5]
	v_cvt_f32_f64_e32 v0, v[0:1]
	v_cvt_f32_f64_e32 v1, v[2:3]
	v_lshlrev_b64 v[2:3], 3, v[4:5]
	v_add_co_u32 v2, vcc_lo, v8, v2
	v_add_co_ci_u32_e32 v3, vcc_lo, v9, v3, vcc_lo
	global_store_dwordx2 v[2:3], v[0:1], off
.LBB0_15:
	s_endpgm
	.section	.rodata,"a",@progbits
	.p2align	6, 0x0
	.amdhsa_kernel bluestein_single_back_len221_dim1_sp_op_CI_CI
		.amdhsa_group_segment_fixed_size 12376
		.amdhsa_private_segment_fixed_size 0
		.amdhsa_kernarg_size 104
		.amdhsa_user_sgpr_count 6
		.amdhsa_user_sgpr_private_segment_buffer 1
		.amdhsa_user_sgpr_dispatch_ptr 0
		.amdhsa_user_sgpr_queue_ptr 0
		.amdhsa_user_sgpr_kernarg_segment_ptr 1
		.amdhsa_user_sgpr_dispatch_id 0
		.amdhsa_user_sgpr_flat_scratch_init 0
		.amdhsa_user_sgpr_private_segment_size 0
		.amdhsa_wavefront_size32 1
		.amdhsa_uses_dynamic_stack 0
		.amdhsa_system_sgpr_private_segment_wavefront_offset 0
		.amdhsa_system_sgpr_workgroup_id_x 1
		.amdhsa_system_sgpr_workgroup_id_y 0
		.amdhsa_system_sgpr_workgroup_id_z 0
		.amdhsa_system_sgpr_workgroup_info 0
		.amdhsa_system_vgpr_workitem_id 0
		.amdhsa_next_free_vgpr 227
		.amdhsa_next_free_sgpr 14
		.amdhsa_reserve_vcc 1
		.amdhsa_reserve_flat_scratch 0
		.amdhsa_float_round_mode_32 0
		.amdhsa_float_round_mode_16_64 0
		.amdhsa_float_denorm_mode_32 3
		.amdhsa_float_denorm_mode_16_64 3
		.amdhsa_dx10_clamp 1
		.amdhsa_ieee_mode 1
		.amdhsa_fp16_overflow 0
		.amdhsa_workgroup_processor_mode 1
		.amdhsa_memory_ordered 1
		.amdhsa_forward_progress 0
		.amdhsa_shared_vgpr_count 0
		.amdhsa_exception_fp_ieee_invalid_op 0
		.amdhsa_exception_fp_denorm_src 0
		.amdhsa_exception_fp_ieee_div_zero 0
		.amdhsa_exception_fp_ieee_overflow 0
		.amdhsa_exception_fp_ieee_underflow 0
		.amdhsa_exception_fp_ieee_inexact 0
		.amdhsa_exception_int_div_zero 0
	.end_amdhsa_kernel
	.text
.Lfunc_end0:
	.size	bluestein_single_back_len221_dim1_sp_op_CI_CI, .Lfunc_end0-bluestein_single_back_len221_dim1_sp_op_CI_CI
                                        ; -- End function
	.section	.AMDGPU.csdata,"",@progbits
; Kernel info:
; codeLenInByte = 20140
; NumSgprs: 16
; NumVgprs: 227
; ScratchSize: 0
; MemoryBound: 0
; FloatMode: 240
; IeeeMode: 1
; LDSByteSize: 12376 bytes/workgroup (compile time only)
; SGPRBlocks: 1
; VGPRBlocks: 28
; NumSGPRsForWavesPerEU: 16
; NumVGPRsForWavesPerEU: 227
; Occupancy: 4
; WaveLimiterHint : 1
; COMPUTE_PGM_RSRC2:SCRATCH_EN: 0
; COMPUTE_PGM_RSRC2:USER_SGPR: 6
; COMPUTE_PGM_RSRC2:TRAP_HANDLER: 0
; COMPUTE_PGM_RSRC2:TGID_X_EN: 1
; COMPUTE_PGM_RSRC2:TGID_Y_EN: 0
; COMPUTE_PGM_RSRC2:TGID_Z_EN: 0
; COMPUTE_PGM_RSRC2:TIDIG_COMP_CNT: 0
	.text
	.p2alignl 6, 3214868480
	.fill 48, 4, 3214868480
	.type	__hip_cuid_c80525279f3e67c,@object ; @__hip_cuid_c80525279f3e67c
	.section	.bss,"aw",@nobits
	.globl	__hip_cuid_c80525279f3e67c
__hip_cuid_c80525279f3e67c:
	.byte	0                               ; 0x0
	.size	__hip_cuid_c80525279f3e67c, 1

	.ident	"AMD clang version 19.0.0git (https://github.com/RadeonOpenCompute/llvm-project roc-6.4.0 25133 c7fe45cf4b819c5991fe208aaa96edf142730f1d)"
	.section	".note.GNU-stack","",@progbits
	.addrsig
	.addrsig_sym __hip_cuid_c80525279f3e67c
	.amdgpu_metadata
---
amdhsa.kernels:
  - .args:
      - .actual_access:  read_only
        .address_space:  global
        .offset:         0
        .size:           8
        .value_kind:     global_buffer
      - .actual_access:  read_only
        .address_space:  global
        .offset:         8
        .size:           8
        .value_kind:     global_buffer
      - .actual_access:  read_only
        .address_space:  global
        .offset:         16
        .size:           8
        .value_kind:     global_buffer
      - .actual_access:  read_only
        .address_space:  global
        .offset:         24
        .size:           8
        .value_kind:     global_buffer
      - .actual_access:  read_only
        .address_space:  global
        .offset:         32
        .size:           8
        .value_kind:     global_buffer
      - .offset:         40
        .size:           8
        .value_kind:     by_value
      - .address_space:  global
        .offset:         48
        .size:           8
        .value_kind:     global_buffer
      - .address_space:  global
        .offset:         56
        .size:           8
        .value_kind:     global_buffer
      - .address_space:  global
        .offset:         64
        .size:           8
        .value_kind:     global_buffer
      - .address_space:  global
        .offset:         72
        .size:           8
        .value_kind:     global_buffer
      - .offset:         80
        .size:           4
        .value_kind:     by_value
      - .address_space:  global
        .offset:         88
        .size:           8
        .value_kind:     global_buffer
      - .address_space:  global
        .offset:         96
        .size:           8
        .value_kind:     global_buffer
    .group_segment_fixed_size: 12376
    .kernarg_segment_align: 8
    .kernarg_segment_size: 104
    .language:       OpenCL C
    .language_version:
      - 2
      - 0
    .max_flat_workgroup_size: 119
    .name:           bluestein_single_back_len221_dim1_sp_op_CI_CI
    .private_segment_fixed_size: 0
    .sgpr_count:     16
    .sgpr_spill_count: 0
    .symbol:         bluestein_single_back_len221_dim1_sp_op_CI_CI.kd
    .uniform_work_group_size: 1
    .uses_dynamic_stack: false
    .vgpr_count:     227
    .vgpr_spill_count: 0
    .wavefront_size: 32
    .workgroup_processor_mode: 1
amdhsa.target:   amdgcn-amd-amdhsa--gfx1030
amdhsa.version:
  - 1
  - 2
...

	.end_amdgpu_metadata
